;; amdgpu-corpus repo=pytorch/pytorch kind=compiled arch=gfx906 opt=O3
	.amdgcn_target "amdgcn-amd-amdhsa--gfx906"
	.amdhsa_code_object_version 6
	.section	.text._ZN2at6native12_GLOBAL__N_115adaptivemaxpoolIdEEvPKT_PS3_Pliiiiiilllll,"axG",@progbits,_ZN2at6native12_GLOBAL__N_115adaptivemaxpoolIdEEvPKT_PS3_Pliiiiiilllll,comdat
	.globl	_ZN2at6native12_GLOBAL__N_115adaptivemaxpoolIdEEvPKT_PS3_Pliiiiiilllll ; -- Begin function _ZN2at6native12_GLOBAL__N_115adaptivemaxpoolIdEEvPKT_PS3_Pliiiiiilllll
	.p2align	8
	.type	_ZN2at6native12_GLOBAL__N_115adaptivemaxpoolIdEEvPKT_PS3_Pliiiiiilllll,@function
_ZN2at6native12_GLOBAL__N_115adaptivemaxpoolIdEEvPKT_PS3_Pliiiiiilllll: ; @_ZN2at6native12_GLOBAL__N_115adaptivemaxpoolIdEEvPKT_PS3_Pliiiiiilllll
; %bb.0:
	s_load_dwordx2 s[0:1], s[4:5], 0x50
	s_load_dwordx4 s[16:19], s[4:5], 0x18
	s_load_dwordx2 s[20:21], s[4:5], 0x28
	s_mov_b32 s2, 0
	s_waitcnt lgkmcnt(0)
	s_add_u32 s22, s0, s6
	s_addc_u32 s23, s1, 0
	s_ashr_i32 s1, s19, 31
	s_mov_b32 s0, s19
	s_or_b64 s[8:9], s[22:23], s[0:1]
	s_mov_b32 s3, s9
	s_cmp_lg_u64 s[2:3], 0
	s_cbranch_scc0 .LBB0_52
; %bb.1:
	s_ashr_i32 s2, s1, 31
	s_add_u32 s8, s0, s2
	s_mov_b32 s3, s2
	s_addc_u32 s9, s1, s2
	s_xor_b64 s[10:11], s[8:9], s[2:3]
	v_cvt_f32_u32_e32 v2, s10
	v_cvt_f32_u32_e32 v3, s11
	s_sub_u32 s6, 0, s10
	s_subb_u32 s14, 0, s11
	v_madmk_f32 v2, v3, 0x4f800000, v2
	v_rcp_f32_e32 v2, v2
	v_mul_f32_e32 v2, 0x5f7ffffc, v2
	v_mul_f32_e32 v3, 0x2f800000, v2
	v_trunc_f32_e32 v3, v3
	v_madmk_f32 v2, v3, 0xcf800000, v2
	v_cvt_u32_f32_e32 v3, v3
	v_cvt_u32_f32_e32 v2, v2
	v_readfirstlane_b32 s15, v3
	v_readfirstlane_b32 s12, v2
	s_mul_i32 s13, s6, s15
	s_mul_hi_u32 s24, s6, s12
	s_mul_i32 s19, s14, s12
	s_add_i32 s13, s24, s13
	s_add_i32 s13, s13, s19
	s_mul_i32 s25, s6, s12
	s_mul_i32 s24, s12, s13
	s_mul_hi_u32 s26, s12, s25
	s_mul_hi_u32 s19, s12, s13
	s_add_u32 s24, s26, s24
	s_addc_u32 s19, 0, s19
	s_mul_hi_u32 s27, s15, s25
	s_mul_i32 s25, s15, s25
	s_add_u32 s24, s24, s25
	s_mul_hi_u32 s26, s15, s13
	s_addc_u32 s19, s19, s27
	s_addc_u32 s24, s26, 0
	s_mul_i32 s13, s15, s13
	s_add_u32 s13, s19, s13
	s_addc_u32 s19, 0, s24
	s_add_u32 s24, s12, s13
	s_cselect_b64 s[12:13], -1, 0
	s_cmp_lg_u64 s[12:13], 0
	s_addc_u32 s15, s15, s19
	s_mul_i32 s12, s6, s15
	s_mul_hi_u32 s13, s6, s24
	s_add_i32 s12, s13, s12
	s_mul_i32 s14, s14, s24
	s_add_i32 s12, s12, s14
	s_mul_i32 s6, s6, s24
	s_mul_hi_u32 s14, s15, s6
	s_mul_i32 s19, s15, s6
	s_mul_i32 s26, s24, s12
	s_mul_hi_u32 s6, s24, s6
	s_mul_hi_u32 s25, s24, s12
	s_add_u32 s6, s6, s26
	s_addc_u32 s25, 0, s25
	s_add_u32 s6, s6, s19
	s_mul_hi_u32 s13, s15, s12
	s_addc_u32 s6, s25, s14
	s_addc_u32 s13, s13, 0
	s_mul_i32 s12, s15, s12
	s_add_u32 s6, s6, s12
	s_addc_u32 s14, 0, s13
	s_add_u32 s6, s24, s6
	s_cselect_b64 s[12:13], -1, 0
	s_cmp_lg_u64 s[12:13], 0
	s_addc_u32 s19, s15, s14
	s_ashr_i32 s12, s23, 31
	s_add_u32 s14, s22, s12
	s_mov_b32 s13, s12
	s_addc_u32 s15, s23, s12
	s_xor_b64 s[14:15], s[14:15], s[12:13]
	s_mul_i32 s25, s14, s19
	s_mul_hi_u32 s26, s14, s6
	s_mul_hi_u32 s24, s14, s19
	s_add_u32 s25, s26, s25
	s_addc_u32 s24, 0, s24
	s_mul_hi_u32 s27, s15, s6
	s_mul_i32 s6, s15, s6
	s_add_u32 s6, s25, s6
	s_mul_hi_u32 s26, s15, s19
	s_addc_u32 s6, s24, s27
	s_addc_u32 s24, s26, 0
	s_mul_i32 s19, s15, s19
	s_add_u32 s6, s6, s19
	s_addc_u32 s19, 0, s24
	s_mul_i32 s24, s10, s19
	s_mul_hi_u32 s25, s10, s6
	s_add_i32 s24, s25, s24
	s_mul_i32 s25, s11, s6
	s_add_i32 s28, s24, s25
	s_sub_i32 s26, s15, s28
	s_mul_i32 s24, s10, s6
	s_sub_u32 s14, s14, s24
	s_cselect_b64 s[24:25], -1, 0
	s_cmp_lg_u64 s[24:25], 0
	s_subb_u32 s29, s26, s11
	s_sub_u32 s30, s14, s10
	s_cselect_b64 s[26:27], -1, 0
	s_cmp_lg_u64 s[26:27], 0
	s_subb_u32 s26, s29, 0
	s_cmp_ge_u32 s26, s11
	s_cselect_b32 s27, -1, 0
	s_cmp_ge_u32 s30, s10
	s_cselect_b32 s29, -1, 0
	s_cmp_eq_u32 s26, s11
	s_cselect_b32 s26, s29, s27
	s_add_u32 s27, s6, 1
	s_addc_u32 s29, s19, 0
	s_add_u32 s30, s6, 2
	s_addc_u32 s31, s19, 0
	s_cmp_lg_u32 s26, 0
	s_cselect_b32 s26, s30, s27
	s_cselect_b32 s27, s31, s29
	s_cmp_lg_u64 s[24:25], 0
	s_subb_u32 s15, s15, s28
	s_cmp_ge_u32 s15, s11
	s_cselect_b32 s24, -1, 0
	s_cmp_ge_u32 s14, s10
	s_cselect_b32 s10, -1, 0
	s_cmp_eq_u32 s15, s11
	s_cselect_b32 s10, s10, s24
	s_cmp_lg_u32 s10, 0
	s_cselect_b32 s11, s27, s19
	s_cselect_b32 s10, s26, s6
	s_xor_b64 s[2:3], s[12:13], s[2:3]
	s_xor_b64 s[10:11], s[10:11], s[2:3]
	s_sub_u32 s24, s10, s2
	s_subb_u32 s25, s11, s3
	s_cbranch_execnz .LBB0_3
.LBB0_2:
	v_cvt_f32_u32_e32 v2, s0
	s_sub_i32 s2, 0, s0
	s_mov_b32 s25, 0
	v_rcp_iflag_f32_e32 v2, v2
	v_mul_f32_e32 v2, 0x4f7ffffe, v2
	v_cvt_u32_f32_e32 v2, v2
	v_readfirstlane_b32 s3, v2
	s_mul_i32 s2, s2, s3
	s_mul_hi_u32 s2, s3, s2
	s_add_i32 s3, s3, s2
	s_mul_hi_u32 s2, s22, s3
	s_mul_i32 s6, s2, s0
	s_sub_i32 s6, s22, s6
	s_add_i32 s3, s2, 1
	s_sub_i32 s8, s6, s0
	s_cmp_ge_u32 s6, s0
	s_cselect_b32 s2, s3, s2
	s_cselect_b32 s6, s8, s6
	s_add_i32 s3, s2, 1
	s_cmp_ge_u32 s6, s0
	s_cselect_b32 s24, s3, s2
.LBB0_3:
	s_mul_i32 s2, s24, s1
	s_mul_hi_u32 s3, s24, s0
	s_add_i32 s2, s3, s2
	s_mul_i32 s3, s25, s0
	s_add_i32 s2, s2, s3
	s_mul_i32 s3, s24, s0
	s_sub_u32 s14, s22, s3
	s_subb_u32 s15, s23, s2
	s_abs_i32 s2, s0
	v_cvt_f32_u32_e32 v2, s2
	s_sub_i32 s10, 0, s2
	s_abs_i32 s9, s14
	s_xor_b32 s3, s14, s0
	v_rcp_iflag_f32_e32 v2, v2
	s_ashr_i32 s6, s16, 31
	s_ashr_i32 s3, s3, 31
	s_mov_b32 s8, 0
	v_mul_f32_e32 v2, 0x4f7ffffe, v2
	v_cvt_u32_f32_e32 v2, v2
	v_readfirstlane_b32 s11, v2
	s_mul_i32 s10, s10, s11
	s_mul_hi_u32 s10, s11, s10
	s_add_i32 s11, s11, s10
	s_mul_hi_u32 s10, s9, s11
	s_mul_i32 s11, s10, s2
	s_sub_i32 s9, s9, s11
	s_add_i32 s11, s10, 1
	s_sub_i32 s12, s9, s2
	s_cmp_ge_u32 s9, s2
	s_cselect_b32 s10, s11, s10
	s_cselect_b32 s9, s12, s9
	s_add_i32 s11, s10, 1
	s_cmp_ge_u32 s9, s2
	s_cselect_b32 s2, s11, s10
	s_xor_b32 s2, s2, s3
	s_sub_i32 s19, s2, s3
	s_mul_i32 s2, s19, s0
	s_sub_i32 s2, s14, s2
	s_mul_hi_i32 s3, s2, s16
	s_mul_i32 s2, s2, s16
	s_or_b64 s[10:11], s[2:3], s[0:1]
	s_mov_b32 s9, s11
	s_cmp_lg_u64 s[8:9], 0
	s_cbranch_scc0 .LBB0_53
; %bb.4:
	s_ashr_i32 s8, s1, 31
	s_add_u32 s10, s0, s8
	s_mov_b32 s9, s8
	s_addc_u32 s11, s1, s8
	s_xor_b64 s[12:13], s[10:11], s[8:9]
	v_cvt_f32_u32_e32 v2, s12
	v_cvt_f32_u32_e32 v3, s13
	s_sub_u32 s28, 0, s12
	s_subb_u32 s29, 0, s13
	v_madmk_f32 v2, v3, 0x4f800000, v2
	v_rcp_f32_e32 v2, v2
	v_mul_f32_e32 v2, 0x5f7ffffc, v2
	v_mul_f32_e32 v3, 0x2f800000, v2
	v_trunc_f32_e32 v3, v3
	v_madmk_f32 v2, v3, 0xcf800000, v2
	v_cvt_u32_f32_e32 v3, v3
	v_cvt_u32_f32_e32 v2, v2
	v_readfirstlane_b32 s30, v3
	v_readfirstlane_b32 s26, v2
	s_mul_i32 s27, s28, s30
	s_mul_hi_u32 s33, s28, s26
	s_mul_i32 s31, s29, s26
	s_add_i32 s27, s33, s27
	s_add_i32 s27, s27, s31
	s_mul_i32 s34, s28, s26
	s_mul_i32 s33, s26, s27
	s_mul_hi_u32 s35, s26, s34
	s_mul_hi_u32 s31, s26, s27
	s_add_u32 s33, s35, s33
	s_addc_u32 s31, 0, s31
	s_mul_hi_u32 s36, s30, s34
	s_mul_i32 s34, s30, s34
	s_add_u32 s33, s33, s34
	s_mul_hi_u32 s35, s30, s27
	s_addc_u32 s31, s31, s36
	s_addc_u32 s33, s35, 0
	s_mul_i32 s27, s30, s27
	s_add_u32 s27, s31, s27
	s_addc_u32 s31, 0, s33
	s_add_u32 s33, s26, s27
	s_cselect_b64 s[26:27], -1, 0
	s_cmp_lg_u64 s[26:27], 0
	s_addc_u32 s30, s30, s31
	s_mul_i32 s26, s28, s30
	s_mul_hi_u32 s27, s28, s33
	s_add_i32 s26, s27, s26
	s_mul_i32 s29, s29, s33
	s_add_i32 s26, s26, s29
	s_mul_i32 s28, s28, s33
	s_mul_hi_u32 s29, s30, s28
	s_mul_i32 s31, s30, s28
	s_mul_i32 s35, s33, s26
	s_mul_hi_u32 s28, s33, s28
	s_mul_hi_u32 s34, s33, s26
	s_add_u32 s28, s28, s35
	s_addc_u32 s34, 0, s34
	s_add_u32 s28, s28, s31
	s_mul_hi_u32 s27, s30, s26
	s_addc_u32 s28, s34, s29
	s_addc_u32 s27, s27, 0
	s_mul_i32 s26, s30, s26
	s_add_u32 s26, s28, s26
	s_addc_u32 s28, 0, s27
	s_add_u32 s31, s33, s26
	s_cselect_b64 s[26:27], -1, 0
	s_cmp_lg_u64 s[26:27], 0
	s_addc_u32 s30, s30, s28
	s_ashr_i32 s26, s3, 31
	s_add_u32 s28, s2, s26
	s_mov_b32 s27, s26
	s_addc_u32 s29, s3, s26
	s_xor_b64 s[28:29], s[28:29], s[26:27]
	s_mul_i32 s33, s28, s30
	s_mul_hi_u32 s34, s28, s31
	s_mul_hi_u32 s3, s28, s30
	s_add_u32 s33, s34, s33
	s_addc_u32 s3, 0, s3
	s_mul_hi_u32 s35, s29, s31
	s_mul_i32 s31, s29, s31
	s_add_u32 s31, s33, s31
	s_mul_hi_u32 s34, s29, s30
	s_addc_u32 s3, s3, s35
	s_addc_u32 s31, s34, 0
	s_mul_i32 s30, s29, s30
	s_add_u32 s3, s3, s30
	s_addc_u32 s33, 0, s31
	s_mul_i32 s30, s12, s33
	s_mul_hi_u32 s31, s12, s3
	s_add_i32 s30, s31, s30
	s_mul_i32 s31, s13, s3
	s_add_i32 s36, s30, s31
	s_sub_i32 s34, s29, s36
	s_mul_i32 s30, s12, s3
	s_sub_u32 s28, s28, s30
	s_cselect_b64 s[30:31], -1, 0
	s_cmp_lg_u64 s[30:31], 0
	s_subb_u32 s37, s34, s13
	s_sub_u32 s38, s28, s12
	s_cselect_b64 s[34:35], -1, 0
	s_cmp_lg_u64 s[34:35], 0
	s_subb_u32 s34, s37, 0
	s_cmp_ge_u32 s34, s13
	s_cselect_b32 s35, -1, 0
	s_cmp_ge_u32 s38, s12
	s_cselect_b32 s37, -1, 0
	s_cmp_eq_u32 s34, s13
	s_cselect_b32 s34, s37, s35
	s_add_u32 s35, s3, 1
	s_addc_u32 s37, s33, 0
	s_add_u32 s38, s3, 2
	s_addc_u32 s39, s33, 0
	s_cmp_lg_u32 s34, 0
	s_cselect_b32 s34, s38, s35
	s_cselect_b32 s35, s39, s37
	s_cmp_lg_u64 s[30:31], 0
	s_subb_u32 s29, s29, s36
	s_cmp_ge_u32 s29, s13
	s_cselect_b32 s30, -1, 0
	s_cmp_ge_u32 s28, s12
	s_cselect_b32 s12, -1, 0
	s_cmp_eq_u32 s29, s13
	s_cselect_b32 s12, s12, s30
	s_cmp_lg_u32 s12, 0
	s_cselect_b32 s13, s35, s33
	s_cselect_b32 s12, s34, s3
	s_xor_b64 s[8:9], s[26:27], s[8:9]
	s_xor_b64 s[12:13], s[12:13], s[8:9]
	s_sub_u32 s26, s12, s8
	s_subb_u32 s27, s13, s9
	s_cbranch_execnz .LBB0_6
.LBB0_5:
	v_cvt_f32_u32_e32 v2, s0
	s_sub_i32 s3, 0, s0
	s_mov_b32 s27, 0
	v_rcp_iflag_f32_e32 v2, v2
	v_mul_f32_e32 v2, 0x4f7ffffe, v2
	v_cvt_u32_f32_e32 v2, v2
	v_readfirstlane_b32 s8, v2
	s_mul_i32 s3, s3, s8
	s_mul_hi_u32 s3, s8, s3
	s_add_i32 s8, s8, s3
	s_mul_hi_u32 s3, s2, s8
	s_mul_i32 s9, s3, s0
	s_sub_i32 s2, s2, s9
	s_add_i32 s8, s3, 1
	s_sub_i32 s9, s2, s0
	s_cmp_ge_u32 s2, s0
	s_cselect_b32 s3, s8, s3
	s_cselect_b32 s2, s9, s2
	s_add_i32 s8, s3, 1
	s_cmp_ge_u32 s2, s0
	s_cselect_b32 s26, s8, s3
.LBB0_6:
	s_add_u32 s2, s14, 1
	s_addc_u32 s3, s15, 0
	s_mul_i32 s8, s2, s6
	s_mul_hi_u32 s9, s2, s16
	s_add_i32 s8, s9, s8
	s_mul_i32 s3, s3, s16
	s_add_i32 s8, s8, s3
	s_mul_i32 s2, s2, s16
	s_add_u32 s2, s2, -1
	s_addc_u32 s3, s8, -1
	s_or_b64 s[8:9], s[2:3], s[0:1]
	s_mov_b32 s8, 0
	s_cmp_lg_u64 s[8:9], 0
	s_mov_b64 s[8:9], -1
	s_cbranch_scc0 .LBB0_54
; %bb.7:
	s_ashr_i32 s10, s1, 31
	s_add_u32 s8, s0, s10
	s_mov_b32 s11, s10
	s_addc_u32 s9, s1, s10
	s_xor_b64 s[12:13], s[8:9], s[10:11]
	v_cvt_f32_u32_e32 v2, s12
	v_cvt_f32_u32_e32 v3, s13
	s_sub_u32 s1, 0, s12
	s_subb_u32 s28, 0, s13
	v_madmk_f32 v2, v3, 0x4f800000, v2
	v_rcp_f32_e32 v2, v2
	v_mul_f32_e32 v2, 0x5f7ffffc, v2
	v_mul_f32_e32 v3, 0x2f800000, v2
	v_trunc_f32_e32 v3, v3
	v_madmk_f32 v2, v3, 0xcf800000, v2
	v_cvt_u32_f32_e32 v3, v3
	v_cvt_u32_f32_e32 v2, v2
	v_readfirstlane_b32 s29, v3
	v_readfirstlane_b32 s14, v2
	s_mul_i32 s15, s1, s29
	s_mul_hi_u32 s31, s1, s14
	s_mul_i32 s30, s28, s14
	s_add_i32 s15, s31, s15
	s_add_i32 s15, s15, s30
	s_mul_i32 s33, s1, s14
	s_mul_i32 s31, s14, s15
	s_mul_hi_u32 s34, s14, s33
	s_mul_hi_u32 s30, s14, s15
	s_add_u32 s31, s34, s31
	s_addc_u32 s30, 0, s30
	s_mul_hi_u32 s35, s29, s33
	s_mul_i32 s33, s29, s33
	s_add_u32 s31, s31, s33
	s_mul_hi_u32 s34, s29, s15
	s_addc_u32 s30, s30, s35
	s_addc_u32 s31, s34, 0
	s_mul_i32 s15, s29, s15
	s_add_u32 s15, s30, s15
	s_addc_u32 s30, 0, s31
	s_add_u32 s31, s14, s15
	s_cselect_b64 s[14:15], -1, 0
	s_cmp_lg_u64 s[14:15], 0
	s_addc_u32 s29, s29, s30
	s_mul_i32 s14, s1, s29
	s_mul_hi_u32 s15, s1, s31
	s_add_i32 s14, s15, s14
	s_mul_i32 s28, s28, s31
	s_add_i32 s14, s14, s28
	s_mul_i32 s1, s1, s31
	s_mul_hi_u32 s28, s29, s1
	s_mul_i32 s30, s29, s1
	s_mul_i32 s34, s31, s14
	s_mul_hi_u32 s1, s31, s1
	s_mul_hi_u32 s33, s31, s14
	s_add_u32 s1, s1, s34
	s_addc_u32 s33, 0, s33
	s_add_u32 s1, s1, s30
	s_mul_hi_u32 s15, s29, s14
	s_addc_u32 s1, s33, s28
	s_addc_u32 s15, s15, 0
	s_mul_i32 s14, s29, s14
	s_add_u32 s1, s1, s14
	s_addc_u32 s28, 0, s15
	s_add_u32 s1, s31, s1
	s_cselect_b64 s[14:15], -1, 0
	s_cmp_lg_u64 s[14:15], 0
	s_addc_u32 s30, s29, s28
	s_ashr_i32 s14, s3, 31
	s_add_u32 s28, s2, s14
	s_mov_b32 s15, s14
	s_addc_u32 s29, s3, s14
	s_xor_b64 s[28:29], s[28:29], s[14:15]
	s_mul_i32 s31, s28, s30
	s_mul_hi_u32 s33, s28, s1
	s_mul_hi_u32 s3, s28, s30
	s_add_u32 s31, s33, s31
	s_addc_u32 s3, 0, s3
	s_mul_hi_u32 s34, s29, s1
	s_mul_i32 s1, s29, s1
	s_add_u32 s1, s31, s1
	s_mul_hi_u32 s33, s29, s30
	s_addc_u32 s1, s3, s34
	s_addc_u32 s3, s33, 0
	s_mul_i32 s30, s29, s30
	s_add_u32 s1, s1, s30
	s_addc_u32 s3, 0, s3
	s_mul_i32 s30, s12, s3
	s_mul_hi_u32 s31, s12, s1
	s_add_i32 s30, s31, s30
	s_mul_i32 s31, s13, s1
	s_add_i32 s33, s30, s31
	s_sub_i32 s34, s29, s33
	s_mul_i32 s30, s12, s1
	s_sub_u32 s28, s28, s30
	s_cselect_b64 s[30:31], -1, 0
	s_cmp_lg_u64 s[30:31], 0
	s_subb_u32 s36, s34, s13
	s_sub_u32 s37, s28, s12
	s_cselect_b64 s[34:35], -1, 0
	s_cmp_lg_u64 s[34:35], 0
	s_subb_u32 s34, s36, 0
	s_cmp_ge_u32 s34, s13
	s_cselect_b32 s35, -1, 0
	s_cmp_ge_u32 s37, s12
	s_cselect_b32 s36, -1, 0
	s_cmp_eq_u32 s34, s13
	s_cselect_b32 s34, s36, s35
	s_add_u32 s35, s1, 1
	s_addc_u32 s36, s3, 0
	s_add_u32 s37, s1, 2
	s_addc_u32 s38, s3, 0
	s_cmp_lg_u32 s34, 0
	s_cselect_b32 s34, s37, s35
	s_cselect_b32 s35, s38, s36
	s_cmp_lg_u64 s[30:31], 0
	s_subb_u32 s29, s29, s33
	s_cmp_ge_u32 s29, s13
	s_cselect_b32 s30, -1, 0
	s_cmp_ge_u32 s28, s12
	s_cselect_b32 s12, -1, 0
	s_cmp_eq_u32 s29, s13
	s_cselect_b32 s12, s12, s30
	s_cmp_lg_u32 s12, 0
	s_cselect_b32 s13, s35, s3
	s_cselect_b32 s12, s34, s1
	s_xor_b64 s[10:11], s[14:15], s[10:11]
	s_xor_b64 s[12:13], s[12:13], s[10:11]
	s_sub_u32 s28, s12, s10
	s_load_dword s29, s[4:5], 0x64
	s_cbranch_execnz .LBB0_9
.LBB0_8:
	v_cvt_f32_u32_e32 v2, s0
	s_sub_i32 s1, 0, s0
	v_rcp_iflag_f32_e32 v2, v2
	v_mul_f32_e32 v2, 0x4f7ffffe, v2
	v_cvt_u32_f32_e32 v2, v2
	v_readfirstlane_b32 s3, v2
	s_mul_i32 s1, s1, s3
	s_mul_hi_u32 s1, s3, s1
	s_add_i32 s3, s3, s1
	s_mul_hi_u32 s1, s2, s3
	s_mul_i32 s8, s1, s0
	s_sub_i32 s2, s2, s8
	s_add_i32 s3, s1, 1
	s_sub_i32 s8, s2, s0
	s_cmp_ge_u32 s2, s0
	s_cselect_b32 s1, s3, s1
	s_cselect_b32 s2, s8, s2
	s_add_i32 s3, s1, 1
	s_cmp_ge_u32 s2, s0
	s_cselect_b32 s28, s3, s1
.LBB0_9:
	s_waitcnt lgkmcnt(0)
	s_lshr_b32 s30, s29, 16
	s_mul_i32 s7, s7, s30
	v_add_u32_e32 v17, s7, v1
	v_cmp_gt_i32_e32 vcc, s20, v17
	s_and_saveexec_b64 s[0:1], vcc
	s_cbranch_execz .LBB0_51
; %bb.10:
	s_mul_i32 s0, s19, s6
	s_mul_hi_u32 s1, s19, s16
	s_add_i32 s1, s1, s0
	s_mul_i32 s56, s19, s16
	s_add_u32 s6, s26, s56
	s_addc_u32 s7, s27, s1
	s_load_dwordx8 s[8:15], s[4:5], 0x30
	s_load_dword s48, s[4:5], 0x5c
	s_load_dwordx4 s[0:3], s[4:5], 0x0
	s_load_dwordx2 s[34:35], s[4:5], 0x10
	s_bfe_i64 s[4:5], s[24:25], 0x200000
	s_bfe_i64 s[36:37], s[6:7], 0x200000
	s_mul_i32 s7, s21, s20
	s_mul_hi_i32 s4, s21, s20
	s_mul_i32 s23, s7, s23
	s_mul_hi_u32 s25, s7, s22
	s_add_i32 s23, s25, s23
	s_mul_i32 s4, s4, s22
	s_sub_i32 s16, s28, s6
	s_add_i32 s23, s23, s4
	s_mul_i32 s22, s7, s22
	s_add_i32 s16, s16, 1
	s_ashr_i32 s19, s20, 31
	s_ashr_i32 s42, s21, 31
	s_lshl_b64 s[22:23], s[22:23], 3
	s_waitcnt lgkmcnt(0)
	s_add_u32 s44, s2, s22
	s_addc_u32 s45, s3, s23
	s_add_u32 s46, s34, s22
	s_addc_u32 s47, s35, s23
	s_and_b32 s49, s29, 0xffff
	s_ashr_i32 s50, s17, 31
	s_ashr_i32 s51, s18, 31
	s_cmp_gt_i32 s16, 0
	s_mul_hi_u32 s2, s10, s6
	s_mul_i32 s3, s10, s37
	s_mul_hi_u32 s4, s8, s24
	s_mul_i32 s5, s8, s5
	s_cselect_b64 s[22:23], -1, 0
	s_add_i32 s2, s2, s3
	s_mul_i32 s3, s11, s6
	s_add_i32 s4, s4, s5
	s_mul_i32 s5, s9, s24
	;; [unrolled: 2-line block ×4, first 2 shown]
	s_lshl_b64 s[2:3], s[2:3], 3
	s_lshl_b64 s[4:5], s[4:5], 3
	s_add_u32 s2, s2, s4
	s_addc_u32 s3, s3, s5
	s_add_u32 s8, s0, s2
	s_addc_u32 s9, s1, s3
	s_ashr_i32 s52, s20, 31
	s_add_i32 s0, s20, s52
	s_xor_b32 s53, s0, s52
	v_cvt_f32_u32_e32 v1, s53
	s_mov_b32 s33, s20
	v_cvt_f32_u32_e32 v2, s33
	s_sub_i32 s2, 0, s53
	v_rcp_iflag_f32_e32 v1, v1
	s_mov_b32 s43, s21
	v_rcp_iflag_f32_e32 v2, v2
	s_mul_i32 s48, s48, s30
	v_mul_f32_e32 v1, 0x4f7ffffe, v1
	v_cvt_u32_f32_e32 v1, v1
	v_mul_f32_e32 v2, 0x4f7ffffe, v2
	v_cvt_u32_f32_e32 v18, v2
	s_mov_b32 s54, s17
	v_mul_lo_u32 v3, s2, v1
	v_cmp_gt_i32_e64 s[0:1], s21, v0
	s_mul_i32 s55, s17, s6
	s_mov_b32 s24, 0
	v_mul_hi_u32 v3, v1, v3
	s_lshl_b64 s[12:13], s[12:13], 3
	s_lshl_b64 s[14:15], s[14:15], 3
	;; [unrolled: 1-line block ×3, first 2 shown]
	s_add_i32 s56, s56, s26
	s_mul_i32 s57, s18, s17
	s_mov_b64 s[26:27], 0
	v_mov_b32_e32 v2, 0
	v_add_u32_e32 v19, v1, v3
	s_branch .LBB0_12
.LBB0_11:                               ;   in Loop: Header=BB0_12 Depth=1
	s_or_b64 exec, exec, s[28:29]
	v_add_u32_e32 v17, s48, v17
	v_cmp_le_i32_e32 vcc, s20, v17
	s_or_b64 s[26:27], vcc, s[26:27]
	s_andn2_b64 exec, exec, s[26:27]
	s_cbranch_execz .LBB0_51
.LBB0_12:                               ; =>This Loop Header: Depth=1
                                        ;     Child Loop BB0_28 Depth 2
                                        ;       Child Loop BB0_44 Depth 3
                                        ;         Child Loop BB0_47 Depth 4
                                        ;           Child Loop BB0_49 Depth 5
	v_ashrrev_i32_e32 v8, 31, v17
	v_or_b32_e32 v4, s19, v8
	v_mov_b32_e32 v3, v2
	v_cmp_ne_u64_e32 vcc, 0, v[3:4]
                                        ; implicit-def: $vgpr5_vgpr6
	s_and_saveexec_b64 s[2:3], vcc
	s_xor_b64 s[2:3], exec, s[2:3]
	s_cbranch_execz .LBB0_14
; %bb.13:                               ;   in Loop: Header=BB0_12 Depth=1
	v_ashrrev_i32_e32 v1, 31, v17
	v_add_u32_e32 v3, v17, v1
	v_xor_b32_e32 v3, v3, v1
	v_mul_hi_u32 v4, v3, v19
	v_xor_b32_e32 v1, s52, v1
	v_mul_lo_u32 v5, v4, s53
	v_add_u32_e32 v6, 1, v4
	v_sub_u32_e32 v3, v3, v5
	v_subrev_u32_e32 v5, s53, v3
	v_cmp_le_u32_e32 vcc, s53, v3
	v_cndmask_b32_e32 v3, v3, v5, vcc
	v_cndmask_b32_e32 v4, v4, v6, vcc
	v_add_u32_e32 v5, 1, v4
	v_cmp_le_u32_e32 vcc, s53, v3
	v_cndmask_b32_e32 v3, v4, v5, vcc
	v_xor_b32_e32 v3, v3, v1
	v_sub_u32_e32 v5, v3, v1
	v_ashrrev_i32_e32 v6, 31, v5
.LBB0_14:                               ;   in Loop: Header=BB0_12 Depth=1
	s_andn2_saveexec_b64 s[2:3], s[2:3]
	s_cbranch_execz .LBB0_16
; %bb.15:                               ;   in Loop: Header=BB0_12 Depth=1
	s_sub_i32 s4, 0, s33
	v_mul_lo_u32 v1, s4, v18
	v_mul_hi_u32 v1, v18, v1
	v_add_u32_e32 v1, v18, v1
	v_mul_hi_u32 v1, v17, v1
	v_mul_lo_u32 v3, v1, s33
	v_add_u32_e32 v4, 1, v1
	v_sub_u32_e32 v3, v17, v3
	v_subrev_u32_e32 v5, s33, v3
	v_cmp_le_u32_e32 vcc, s33, v3
	v_cndmask_b32_e32 v3, v3, v5, vcc
	v_cndmask_b32_e32 v1, v1, v4, vcc
	v_add_u32_e32 v4, 1, v1
	v_cmp_le_u32_e32 vcc, s33, v3
	v_cndmask_b32_e32 v1, v1, v4, vcc
	v_mov_b32_e32 v6, v2
	v_mov_b32_e32 v5, v1
.LBB0_16:                               ;   in Loop: Header=BB0_12 Depth=1
	s_or_b64 exec, exec, s[2:3]
	v_mul_lo_u32 v1, v6, s33
	v_mul_lo_u32 v6, v5, s19
	v_mad_u64_u32 v[3:4], s[2:3], v5, s33, 0
	v_add3_u32 v1, v4, v6, v1
	v_sub_co_u32_e32 v3, vcc, v17, v3
	v_subb_co_u32_e32 v1, vcc, v8, v1, vcc
	v_mul_lo_u32 v1, v1, s54
	v_mul_lo_u32 v6, v3, s50
	v_mad_u64_u32 v[3:4], s[2:3], v3, s54, 0
	v_add3_u32 v4, v4, v6, v1
	v_or_b32_e32 v7, s19, v4
	v_mov_b32_e32 v6, v2
	v_cmp_ne_u64_e32 vcc, 0, v[6:7]
                                        ; implicit-def: $vgpr6_vgpr7
	s_and_saveexec_b64 s[2:3], vcc
	s_xor_b64 s[4:5], exec, s[2:3]
	s_cbranch_execz .LBB0_18
; %bb.17:                               ;   in Loop: Header=BB0_12 Depth=1
	s_ashr_i32 s6, s19, 31
	s_add_u32 s2, s33, s6
	s_mov_b32 s7, s6
	s_addc_u32 s3, s19, s6
	s_xor_b64 s[28:29], s[2:3], s[6:7]
	v_cvt_f32_u32_e32 v1, s28
	v_cvt_f32_u32_e32 v6, s29
	s_sub_u32 s7, 0, s28
	s_subb_u32 s25, 0, s29
	v_mac_f32_e32 v1, 0x4f800000, v6
	v_rcp_f32_e32 v1, v1
	v_mul_f32_e32 v1, 0x5f7ffffc, v1
	v_mul_f32_e32 v6, 0x2f800000, v1
	v_trunc_f32_e32 v6, v6
	v_mac_f32_e32 v1, 0xcf800000, v6
	v_cvt_u32_f32_e32 v6, v6
	v_cvt_u32_f32_e32 v1, v1
	v_readfirstlane_b32 s30, v6
	v_readfirstlane_b32 s2, v1
	s_mul_i32 s3, s7, s30
	s_mul_hi_u32 s34, s7, s2
	s_mul_i32 s31, s25, s2
	s_add_i32 s3, s34, s3
	s_add_i32 s3, s3, s31
	s_mul_i32 s35, s7, s2
	s_mul_i32 s34, s2, s3
	s_mul_hi_u32 s36, s2, s35
	s_mul_hi_u32 s31, s2, s3
	s_add_u32 s34, s36, s34
	s_addc_u32 s31, 0, s31
	s_mul_hi_u32 s37, s30, s35
	s_mul_i32 s35, s30, s35
	s_add_u32 s34, s34, s35
	s_mul_hi_u32 s36, s30, s3
	s_addc_u32 s31, s31, s37
	s_addc_u32 s34, s36, 0
	s_mul_i32 s3, s30, s3
	s_add_u32 s3, s31, s3
	s_addc_u32 s31, 0, s34
	s_add_u32 s34, s2, s3
	s_cselect_b64 s[2:3], -1, 0
	s_cmp_lg_u64 s[2:3], 0
	s_addc_u32 s30, s30, s31
	s_mul_i32 s2, s7, s30
	s_mul_hi_u32 s3, s7, s34
	s_add_i32 s2, s3, s2
	s_mul_i32 s25, s25, s34
	s_add_i32 s2, s2, s25
	s_mul_i32 s7, s7, s34
	s_mul_hi_u32 s25, s30, s7
	s_mul_i32 s31, s30, s7
	s_mul_i32 s36, s34, s2
	s_mul_hi_u32 s7, s34, s7
	s_mul_hi_u32 s35, s34, s2
	s_add_u32 s7, s7, s36
	s_addc_u32 s35, 0, s35
	s_add_u32 s7, s7, s31
	s_mul_hi_u32 s3, s30, s2
	s_addc_u32 s7, s35, s25
	s_addc_u32 s3, s3, 0
	s_mul_i32 s2, s30, s2
	s_add_u32 s2, s7, s2
	s_addc_u32 s7, 0, s3
	s_add_u32 s25, s34, s2
	s_cselect_b64 s[2:3], -1, 0
	v_ashrrev_i32_e32 v1, 31, v4
	s_cmp_lg_u64 s[2:3], 0
	v_add_co_u32_e32 v3, vcc, v3, v1
	s_addc_u32 s7, s30, s7
	v_xor_b32_e32 v9, v3, v1
	v_addc_co_u32_e32 v6, vcc, v4, v1, vcc
	v_mad_u64_u32 v[3:4], s[2:3], v9, s7, 0
	v_mul_hi_u32 v7, v9, s25
	v_xor_b32_e32 v10, v6, v1
	v_xor_b32_e32 v1, s6, v1
	v_add_co_u32_e32 v11, vcc, v7, v3
	v_addc_co_u32_e32 v12, vcc, 0, v4, vcc
	v_mad_u64_u32 v[3:4], s[2:3], v10, s25, 0
	v_mad_u64_u32 v[6:7], s[2:3], v10, s7, 0
	v_add_co_u32_e32 v3, vcc, v11, v3
	v_addc_co_u32_e32 v3, vcc, v12, v4, vcc
	v_addc_co_u32_e32 v4, vcc, 0, v7, vcc
	v_add_co_u32_e32 v6, vcc, v3, v6
	v_addc_co_u32_e32 v7, vcc, 0, v4, vcc
	v_mul_lo_u32 v11, s29, v6
	v_mul_lo_u32 v12, s28, v7
	v_mad_u64_u32 v[3:4], s[2:3], s28, v6, 0
	v_add3_u32 v4, v4, v12, v11
	v_sub_u32_e32 v11, v10, v4
	v_mov_b32_e32 v12, s29
	v_sub_co_u32_e32 v3, vcc, v9, v3
	v_subb_co_u32_e64 v9, s[2:3], v11, v12, vcc
	v_subrev_co_u32_e64 v11, s[2:3], s28, v3
	v_subbrev_co_u32_e64 v9, s[2:3], 0, v9, s[2:3]
	v_cmp_le_u32_e64 s[2:3], s29, v9
	v_cndmask_b32_e64 v12, 0, -1, s[2:3]
	v_cmp_le_u32_e64 s[2:3], s28, v11
	v_cndmask_b32_e64 v11, 0, -1, s[2:3]
	v_cmp_eq_u32_e64 s[2:3], s29, v9
	v_cndmask_b32_e64 v9, v12, v11, s[2:3]
	v_add_co_u32_e64 v11, s[2:3], 2, v6
	v_subb_co_u32_e32 v4, vcc, v10, v4, vcc
	v_addc_co_u32_e64 v12, s[2:3], 0, v7, s[2:3]
	v_cmp_le_u32_e32 vcc, s29, v4
	v_add_co_u32_e64 v13, s[2:3], 1, v6
	v_cndmask_b32_e64 v10, 0, -1, vcc
	v_cmp_le_u32_e32 vcc, s28, v3
	v_addc_co_u32_e64 v14, s[2:3], 0, v7, s[2:3]
	v_cndmask_b32_e64 v3, 0, -1, vcc
	v_cmp_eq_u32_e32 vcc, s29, v4
	v_cmp_ne_u32_e64 s[2:3], 0, v9
	v_cndmask_b32_e32 v3, v10, v3, vcc
	v_cmp_ne_u32_e32 vcc, 0, v3
	v_cndmask_b32_e64 v4, v13, v11, s[2:3]
	v_cndmask_b32_e64 v9, v14, v12, s[2:3]
	v_cndmask_b32_e32 v4, v6, v4, vcc
	v_cndmask_b32_e32 v3, v7, v9, vcc
	v_xor_b32_e32 v4, v4, v1
	v_xor_b32_e32 v3, v3, v1
	v_sub_co_u32_e32 v6, vcc, v4, v1
	v_subb_co_u32_e32 v7, vcc, v3, v1, vcc
                                        ; implicit-def: $vgpr3_vgpr4
.LBB0_18:                               ;   in Loop: Header=BB0_12 Depth=1
	s_andn2_saveexec_b64 s[2:3], s[4:5]
	s_cbranch_execz .LBB0_20
; %bb.19:                               ;   in Loop: Header=BB0_12 Depth=1
	s_sub_i32 s4, 0, s33
	v_mul_lo_u32 v1, s4, v18
	v_mul_hi_u32 v1, v18, v1
	v_add_u32_e32 v1, v18, v1
	v_mul_hi_u32 v1, v3, v1
	v_mul_lo_u32 v4, v1, s33
	v_add_u32_e32 v6, 1, v1
	v_sub_u32_e32 v3, v3, v4
	v_subrev_u32_e32 v4, s33, v3
	v_cmp_le_u32_e32 vcc, s33, v3
	v_cndmask_b32_e32 v3, v3, v4, vcc
	v_cndmask_b32_e32 v1, v1, v6, vcc
	v_add_u32_e32 v4, 1, v1
	v_cmp_le_u32_e32 vcc, s33, v3
	v_cndmask_b32_e32 v1, v1, v4, vcc
	v_mov_b32_e32 v7, v2
	v_mov_b32_e32 v6, v1
.LBB0_20:                               ;   in Loop: Header=BB0_12 Depth=1
	s_or_b64 exec, exec, s[2:3]
	v_add_co_u32_e32 v1, vcc, 1, v17
	v_addc_co_u32_e32 v3, vcc, 0, v8, vcc
	v_mul_lo_u32 v8, v1, s50
	v_mul_lo_u32 v9, v3, s54
	v_mad_u64_u32 v[3:4], s[2:3], v1, s54, -1
	v_add3_u32 v4, v9, v4, v8
	v_or_b32_e32 v9, s19, v4
	v_mov_b32_e32 v8, v2
	v_cmp_ne_u64_e32 vcc, 0, v[8:9]
                                        ; implicit-def: $vgpr8_vgpr9
	s_and_saveexec_b64 s[2:3], vcc
	s_xor_b64 s[4:5], exec, s[2:3]
	s_cbranch_execnz .LBB0_23
; %bb.21:                               ;   in Loop: Header=BB0_12 Depth=1
	s_andn2_saveexec_b64 s[2:3], s[4:5]
	s_cbranch_execnz .LBB0_24
.LBB0_22:                               ;   in Loop: Header=BB0_12 Depth=1
	s_or_b64 exec, exec, s[2:3]
	s_and_saveexec_b64 s[28:29], s[0:1]
	s_cbranch_execz .LBB0_11
	s_branch .LBB0_25
.LBB0_23:                               ;   in Loop: Header=BB0_12 Depth=1
	s_ashr_i32 s6, s19, 31
	s_add_u32 s2, s33, s6
	s_mov_b32 s7, s6
	s_addc_u32 s3, s19, s6
	s_xor_b64 s[28:29], s[2:3], s[6:7]
	v_cvt_f32_u32_e32 v1, s28
	v_cvt_f32_u32_e32 v8, s29
	s_sub_u32 s7, 0, s28
	s_subb_u32 s25, 0, s29
	v_mac_f32_e32 v1, 0x4f800000, v8
	v_rcp_f32_e32 v1, v1
	v_mul_f32_e32 v1, 0x5f7ffffc, v1
	v_mul_f32_e32 v8, 0x2f800000, v1
	v_trunc_f32_e32 v8, v8
	v_mac_f32_e32 v1, 0xcf800000, v8
	v_cvt_u32_f32_e32 v8, v8
	v_cvt_u32_f32_e32 v1, v1
	v_readfirstlane_b32 s30, v8
	v_readfirstlane_b32 s2, v1
	s_mul_i32 s3, s7, s30
	s_mul_hi_u32 s34, s7, s2
	s_mul_i32 s31, s25, s2
	s_add_i32 s3, s34, s3
	s_add_i32 s3, s3, s31
	s_mul_i32 s35, s7, s2
	s_mul_i32 s34, s2, s3
	s_mul_hi_u32 s36, s2, s35
	s_mul_hi_u32 s31, s2, s3
	s_add_u32 s34, s36, s34
	s_addc_u32 s31, 0, s31
	s_mul_hi_u32 s37, s30, s35
	s_mul_i32 s35, s30, s35
	s_add_u32 s34, s34, s35
	s_mul_hi_u32 s36, s30, s3
	s_addc_u32 s31, s31, s37
	s_addc_u32 s34, s36, 0
	s_mul_i32 s3, s30, s3
	s_add_u32 s3, s31, s3
	s_addc_u32 s31, 0, s34
	s_add_u32 s34, s2, s3
	s_cselect_b64 s[2:3], -1, 0
	s_cmp_lg_u64 s[2:3], 0
	s_addc_u32 s30, s30, s31
	s_mul_i32 s2, s7, s30
	s_mul_hi_u32 s3, s7, s34
	s_add_i32 s2, s3, s2
	s_mul_i32 s25, s25, s34
	s_add_i32 s2, s2, s25
	s_mul_i32 s7, s7, s34
	s_mul_hi_u32 s25, s30, s7
	s_mul_i32 s31, s30, s7
	s_mul_i32 s36, s34, s2
	s_mul_hi_u32 s7, s34, s7
	s_mul_hi_u32 s35, s34, s2
	s_add_u32 s7, s7, s36
	s_addc_u32 s35, 0, s35
	s_add_u32 s7, s7, s31
	s_mul_hi_u32 s3, s30, s2
	s_addc_u32 s7, s35, s25
	s_addc_u32 s3, s3, 0
	s_mul_i32 s2, s30, s2
	s_add_u32 s2, s7, s2
	s_addc_u32 s7, 0, s3
	s_add_u32 s25, s34, s2
	s_cselect_b64 s[2:3], -1, 0
	v_ashrrev_i32_e32 v1, 31, v4
	s_cmp_lg_u64 s[2:3], 0
	v_add_co_u32_e32 v3, vcc, v3, v1
	s_addc_u32 s7, s30, s7
	v_xor_b32_e32 v10, v3, v1
	v_addc_co_u32_e32 v8, vcc, v4, v1, vcc
	v_mad_u64_u32 v[3:4], s[2:3], v10, s7, 0
	v_mul_hi_u32 v9, v10, s25
	v_xor_b32_e32 v11, v8, v1
	v_xor_b32_e32 v1, s6, v1
	v_add_co_u32_e32 v12, vcc, v9, v3
	v_addc_co_u32_e32 v13, vcc, 0, v4, vcc
	v_mad_u64_u32 v[3:4], s[2:3], v11, s25, 0
	v_mad_u64_u32 v[8:9], s[2:3], v11, s7, 0
	v_add_co_u32_e32 v3, vcc, v12, v3
	v_addc_co_u32_e32 v3, vcc, v13, v4, vcc
	v_addc_co_u32_e32 v4, vcc, 0, v9, vcc
	v_add_co_u32_e32 v8, vcc, v3, v8
	v_addc_co_u32_e32 v3, vcc, 0, v4, vcc
	v_mul_lo_u32 v9, s29, v8
	v_mul_lo_u32 v12, s28, v3
	v_mad_u64_u32 v[3:4], s[2:3], s28, v8, 0
	v_add3_u32 v4, v4, v12, v9
	v_sub_u32_e32 v9, v11, v4
	v_mov_b32_e32 v12, s29
	v_sub_co_u32_e32 v3, vcc, v10, v3
	v_subb_co_u32_e64 v9, s[2:3], v9, v12, vcc
	v_subrev_co_u32_e64 v10, s[2:3], s28, v3
	v_subbrev_co_u32_e64 v9, s[2:3], 0, v9, s[2:3]
	v_cmp_le_u32_e64 s[2:3], s29, v9
	v_subb_co_u32_e32 v4, vcc, v11, v4, vcc
	v_cndmask_b32_e64 v12, 0, -1, s[2:3]
	v_cmp_le_u32_e64 s[2:3], s28, v10
	v_cmp_le_u32_e32 vcc, s29, v4
	v_cndmask_b32_e64 v10, 0, -1, s[2:3]
	v_cmp_eq_u32_e64 s[2:3], s29, v9
	v_cndmask_b32_e64 v11, 0, -1, vcc
	v_cmp_le_u32_e32 vcc, s28, v3
	v_cndmask_b32_e64 v9, v12, v10, s[2:3]
	v_cndmask_b32_e64 v3, 0, -1, vcc
	v_cmp_eq_u32_e32 vcc, s29, v4
	v_add_co_u32_e64 v10, s[2:3], 2, v8
	v_add_co_u32_e64 v12, s[2:3], 1, v8
	v_cndmask_b32_e32 v3, v11, v3, vcc
	v_cmp_ne_u32_e32 vcc, 0, v9
	v_cndmask_b32_e32 v4, v12, v10, vcc
	v_cmp_ne_u32_e32 vcc, 0, v3
	v_cndmask_b32_e32 v3, v8, v4, vcc
	v_xor_b32_e32 v3, v3, v1
	v_sub_co_u32_e32 v8, vcc, v3, v1
                                        ; implicit-def: $vgpr3_vgpr4
	s_andn2_saveexec_b64 s[2:3], s[4:5]
	s_cbranch_execz .LBB0_22
.LBB0_24:                               ;   in Loop: Header=BB0_12 Depth=1
	s_sub_i32 s4, 0, s33
	v_mul_lo_u32 v1, s4, v18
	v_mul_hi_u32 v1, v18, v1
	v_add_u32_e32 v1, v18, v1
	v_mul_hi_u32 v1, v3, v1
	v_mul_lo_u32 v4, v1, s33
	v_add_u32_e32 v8, 1, v1
	v_sub_u32_e32 v3, v3, v4
	v_subrev_u32_e32 v4, s33, v3
	v_cmp_le_u32_e32 vcc, s33, v3
	v_cndmask_b32_e32 v3, v3, v4, vcc
	v_cndmask_b32_e32 v1, v1, v8, vcc
	v_add_u32_e32 v4, 1, v1
	v_cmp_le_u32_e32 vcc, s33, v3
	v_cndmask_b32_e32 v8, v1, v4, vcc
	s_or_b64 exec, exec, s[2:3]
	s_and_saveexec_b64 s[28:29], s[0:1]
	s_cbranch_execz .LBB0_11
.LBB0_25:                               ;   in Loop: Header=BB0_12 Depth=1
	v_mad_u64_u32 v[3:4], s[2:3], v5, s54, v[6:7]
	v_mul_lo_u32 v7, v17, s21
	v_add_u32_e32 v5, s56, v5
	v_sub_u32_e32 v1, v8, v3
	v_add_u32_e32 v20, 1, v1
	v_ashrrev_i32_e32 v8, 31, v7
	v_lshlrev_b64 v[7:8], 3, v[7:8]
	v_mov_b32_e32 v1, s45
	v_add_co_u32_e32 v21, vcc, s44, v7
	v_addc_co_u32_e32 v22, vcc, v1, v8, vcc
	v_mov_b32_e32 v1, s47
	v_add_co_u32_e32 v23, vcc, s46, v7
	v_addc_co_u32_e32 v24, vcc, v1, v8, vcc
	v_mov_b32_e32 v7, s8
	v_ashrrev_i32_e32 v4, 31, v3
	v_add_u32_e32 v1, s55, v3
	v_mov_b32_e32 v8, s9
	v_mul_lo_u32 v25, v1, s18
	v_mul_lo_u32 v1, s12, v4
	v_mul_lo_u32 v9, s13, v3
	v_mad_u64_u32 v[3:4], s[4:5], s12, v3, v[7:8]
	v_mad_u64_u32 v[5:6], s[4:5], s17, v5, v[6:7]
	v_cmp_lt_i32_e64 s[2:3], 0, v20
	v_add3_u32 v4, v9, v4, v1
	s_mov_b64 s[30:31], 0
	v_mov_b32_e32 v1, v0
	s_branch .LBB0_28
.LBB0_26:                               ;   in Loop: Header=BB0_28 Depth=2
	v_mov_b32_e32 v6, 0
	v_mov_b32_e32 v7, 0xfff00000
.LBB0_27:                               ;   in Loop: Header=BB0_28 Depth=2
	v_lshlrev_b64 v[10:11], 3, v[1:2]
	v_add_u32_e32 v1, s49, v1
	v_add_co_u32_e32 v12, vcc, v21, v10
	v_addc_co_u32_e32 v13, vcc, v22, v11, vcc
	v_add_co_u32_e32 v10, vcc, v23, v10
	v_addc_co_u32_e32 v11, vcc, v24, v11, vcc
	v_cmp_le_i32_e32 vcc, s21, v1
	s_or_b64 s[30:31], vcc, s[30:31]
	global_store_dwordx2 v[12:13], v[6:7], off
	global_store_dwordx2 v[10:11], v[8:9], off
	s_andn2_b64 exec, exec, s[30:31]
	s_cbranch_execz .LBB0_11
.LBB0_28:                               ;   Parent Loop BB0_12 Depth=1
                                        ; =>  This Loop Header: Depth=2
                                        ;       Child Loop BB0_44 Depth 3
                                        ;         Child Loop BB0_47 Depth 4
                                        ;           Child Loop BB0_49 Depth 5
	s_mov_b32 s25, s42
	s_cmp_lg_u64 s[24:25], 0
	s_cselect_b64 s[4:5], -1, 0
                                        ; implicit-def: $vgpr6_vgpr7
	s_and_saveexec_b64 s[6:7], s[4:5]
	s_xor_b64 s[6:7], exec, s[6:7]
	s_cbranch_execz .LBB0_30
; %bb.29:                               ;   in Loop: Header=BB0_28 Depth=2
	s_ashr_i32 s34, s42, 31
	s_add_u32 s4, s43, s34
	s_mov_b32 s35, s34
	s_addc_u32 s5, s42, s34
	s_xor_b64 s[36:37], s[4:5], s[34:35]
	v_cvt_f32_u32_e32 v6, s36
	v_cvt_f32_u32_e32 v7, s37
	s_sub_u32 s25, 0, s36
	s_subb_u32 s35, 0, s37
	v_add_co_u32_e32 v10, vcc, 0, v1
	v_mac_f32_e32 v6, 0x4f800000, v7
	v_rcp_f32_e32 v6, v6
	v_mul_f32_e32 v6, 0x5f7ffffc, v6
	v_mul_f32_e32 v7, 0x2f800000, v6
	v_trunc_f32_e32 v7, v7
	v_mac_f32_e32 v6, 0xcf800000, v7
	v_cvt_u32_f32_e32 v7, v7
	v_cvt_u32_f32_e32 v6, v6
	v_readfirstlane_b32 s38, v7
	v_readfirstlane_b32 s4, v6
	s_mul_i32 s5, s25, s38
	s_mul_hi_u32 s40, s25, s4
	s_mul_i32 s39, s35, s4
	s_add_i32 s5, s40, s5
	s_add_i32 s5, s5, s39
	s_mul_i32 s41, s25, s4
	s_mul_i32 s40, s4, s5
	s_mul_hi_u32 s58, s4, s41
	s_mul_hi_u32 s39, s4, s5
	s_add_u32 s40, s58, s40
	s_addc_u32 s39, 0, s39
	s_mul_hi_u32 s59, s38, s41
	s_mul_i32 s41, s38, s41
	s_add_u32 s40, s40, s41
	s_mul_hi_u32 s58, s38, s5
	s_addc_u32 s39, s39, s59
	s_addc_u32 s40, s58, 0
	s_mul_i32 s5, s38, s5
	s_add_u32 s5, s39, s5
	s_addc_u32 s39, 0, s40
	s_add_u32 s40, s4, s5
	s_cselect_b64 s[4:5], -1, 0
	s_cmp_lg_u64 s[4:5], 0
	s_addc_u32 s38, s38, s39
	s_mul_i32 s4, s25, s38
	s_mul_hi_u32 s5, s25, s40
	s_add_i32 s4, s5, s4
	s_mul_i32 s35, s35, s40
	s_add_i32 s4, s4, s35
	s_mul_i32 s25, s25, s40
	s_mul_hi_u32 s35, s38, s25
	s_mul_i32 s39, s38, s25
	s_mul_i32 s58, s40, s4
	s_mul_hi_u32 s25, s40, s25
	s_mul_hi_u32 s41, s40, s4
	s_add_u32 s25, s25, s58
	s_addc_u32 s41, 0, s41
	s_add_u32 s25, s25, s39
	s_mul_hi_u32 s5, s38, s4
	s_addc_u32 s25, s41, s35
	s_addc_u32 s5, s5, 0
	s_mul_i32 s4, s38, s4
	s_add_u32 s4, s25, s4
	s_addc_u32 s25, 0, s5
	s_add_u32 s35, s40, s4
	s_cselect_b64 s[4:5], -1, 0
	s_cmp_lg_u64 s[4:5], 0
	s_addc_u32 s25, s38, s25
	v_mad_u64_u32 v[6:7], s[4:5], v10, s25, 0
	v_mul_hi_u32 v8, v10, s35
	v_addc_co_u32_e64 v11, s[4:5], 0, 0, vcc
	v_add_co_u32_e32 v12, vcc, v8, v6
	v_addc_co_u32_e32 v13, vcc, 0, v7, vcc
	v_mad_u64_u32 v[6:7], s[4:5], v11, s35, 0
	v_mad_u64_u32 v[8:9], s[4:5], v11, s25, 0
	v_add_co_u32_e32 v6, vcc, v12, v6
	v_addc_co_u32_e32 v6, vcc, v13, v7, vcc
	v_addc_co_u32_e32 v7, vcc, 0, v9, vcc
	v_add_co_u32_e32 v8, vcc, v6, v8
	v_addc_co_u32_e32 v9, vcc, 0, v7, vcc
	v_mul_lo_u32 v12, s37, v8
	v_mul_lo_u32 v13, s36, v9
	v_mad_u64_u32 v[6:7], s[4:5], s36, v8, 0
	v_add3_u32 v7, v7, v13, v12
	v_sub_u32_e32 v12, v11, v7
	v_mov_b32_e32 v13, s37
	v_sub_co_u32_e32 v6, vcc, v10, v6
	v_subb_co_u32_e64 v10, s[4:5], v12, v13, vcc
	v_subrev_co_u32_e64 v12, s[4:5], s36, v6
	v_subbrev_co_u32_e64 v10, s[4:5], 0, v10, s[4:5]
	v_cmp_le_u32_e64 s[4:5], s37, v10
	v_cndmask_b32_e64 v13, 0, -1, s[4:5]
	v_cmp_le_u32_e64 s[4:5], s36, v12
	v_cndmask_b32_e64 v12, 0, -1, s[4:5]
	v_cmp_eq_u32_e64 s[4:5], s37, v10
	v_cndmask_b32_e64 v10, v13, v12, s[4:5]
	v_add_co_u32_e64 v12, s[4:5], 2, v8
	v_subb_co_u32_e32 v7, vcc, v11, v7, vcc
	v_addc_co_u32_e64 v13, s[4:5], 0, v9, s[4:5]
	v_cmp_le_u32_e32 vcc, s37, v7
	v_add_co_u32_e64 v14, s[4:5], 1, v8
	v_cndmask_b32_e64 v11, 0, -1, vcc
	v_cmp_le_u32_e32 vcc, s36, v6
	v_addc_co_u32_e64 v15, s[4:5], 0, v9, s[4:5]
	v_cndmask_b32_e64 v6, 0, -1, vcc
	v_cmp_eq_u32_e32 vcc, s37, v7
	v_cmp_ne_u32_e64 s[4:5], 0, v10
	v_cndmask_b32_e32 v6, v11, v6, vcc
	v_cndmask_b32_e64 v10, v15, v13, s[4:5]
	v_cmp_ne_u32_e32 vcc, 0, v6
	v_cndmask_b32_e64 v7, v14, v12, s[4:5]
	v_cndmask_b32_e32 v6, v9, v10, vcc
	v_cndmask_b32_e32 v7, v8, v7, vcc
	v_xor_b32_e32 v8, s34, v6
	v_xor_b32_e32 v6, s34, v7
	v_mov_b32_e32 v7, s34
	v_subrev_co_u32_e32 v6, vcc, s34, v6
	v_subb_co_u32_e32 v7, vcc, v8, v7, vcc
.LBB0_30:                               ;   in Loop: Header=BB0_28 Depth=2
	s_andn2_saveexec_b64 s[4:5], s[6:7]
	s_cbranch_execz .LBB0_32
; %bb.31:                               ;   in Loop: Header=BB0_28 Depth=2
	v_cvt_f32_u32_e32 v6, s43
	s_sub_i32 s6, 0, s43
	v_rcp_iflag_f32_e32 v6, v6
	v_mul_f32_e32 v6, 0x4f7ffffe, v6
	v_cvt_u32_f32_e32 v6, v6
	v_mul_lo_u32 v7, s6, v6
	v_mul_hi_u32 v7, v6, v7
	v_add_u32_e32 v6, v6, v7
	v_mul_hi_u32 v6, v1, v6
	v_mul_lo_u32 v7, v6, s43
	v_add_u32_e32 v8, 1, v6
	v_sub_u32_e32 v7, v1, v7
	v_subrev_u32_e32 v9, s43, v7
	v_cmp_le_u32_e32 vcc, s43, v7
	v_cndmask_b32_e32 v7, v7, v9, vcc
	v_cndmask_b32_e32 v6, v6, v8, vcc
	v_add_u32_e32 v8, 1, v6
	v_cmp_le_u32_e32 vcc, s43, v7
	v_cndmask_b32_e32 v6, v6, v8, vcc
	v_mov_b32_e32 v7, v2
.LBB0_32:                               ;   in Loop: Header=BB0_28 Depth=2
	s_or_b64 exec, exec, s[4:5]
	v_mul_lo_u32 v9, v7, s43
	v_mul_lo_u32 v10, v6, s42
	v_mad_u64_u32 v[7:8], s[4:5], v6, s43, 0
	v_add3_u32 v8, v8, v10, v9
	v_sub_co_u32_e32 v7, vcc, v1, v7
	v_subb_co_u32_e32 v8, vcc, 0, v8, vcc
	v_mul_lo_u32 v8, v8, s18
	v_mul_lo_u32 v11, v7, s51
	v_mad_u64_u32 v[9:10], s[4:5], v7, s18, 0
	v_mov_b32_e32 v7, v2
	v_add3_u32 v10, v10, v11, v8
	v_or_b32_e32 v8, s42, v10
	v_cmp_ne_u64_e32 vcc, 0, v[7:8]
                                        ; implicit-def: $vgpr7_vgpr8
	s_and_saveexec_b64 s[4:5], vcc
	s_xor_b64 s[6:7], exec, s[4:5]
	s_cbranch_execz .LBB0_34
; %bb.33:                               ;   in Loop: Header=BB0_28 Depth=2
	s_ashr_i32 s34, s42, 31
	s_add_u32 s4, s43, s34
	s_mov_b32 s35, s34
	s_addc_u32 s5, s42, s34
	s_xor_b64 s[36:37], s[4:5], s[34:35]
	v_cvt_f32_u32_e32 v7, s36
	v_cvt_f32_u32_e32 v8, s37
	s_sub_u32 s25, 0, s36
	s_subb_u32 s35, 0, s37
	v_ashrrev_i32_e32 v11, 31, v10
	v_mac_f32_e32 v7, 0x4f800000, v8
	v_rcp_f32_e32 v7, v7
	v_mul_f32_e32 v7, 0x5f7ffffc, v7
	v_mul_f32_e32 v8, 0x2f800000, v7
	v_trunc_f32_e32 v8, v8
	v_mac_f32_e32 v7, 0xcf800000, v8
	v_cvt_u32_f32_e32 v8, v8
	v_cvt_u32_f32_e32 v7, v7
	v_readfirstlane_b32 s38, v8
	v_readfirstlane_b32 s4, v7
	s_mul_i32 s5, s25, s38
	s_mul_hi_u32 s40, s25, s4
	s_mul_i32 s39, s35, s4
	s_add_i32 s5, s40, s5
	s_add_i32 s5, s5, s39
	s_mul_i32 s41, s25, s4
	s_mul_i32 s40, s4, s5
	s_mul_hi_u32 s58, s4, s41
	s_mul_hi_u32 s39, s4, s5
	s_add_u32 s40, s58, s40
	s_addc_u32 s39, 0, s39
	s_mul_hi_u32 s59, s38, s41
	s_mul_i32 s41, s38, s41
	s_add_u32 s40, s40, s41
	s_mul_hi_u32 s58, s38, s5
	s_addc_u32 s39, s39, s59
	s_addc_u32 s40, s58, 0
	s_mul_i32 s5, s38, s5
	s_add_u32 s5, s39, s5
	s_addc_u32 s39, 0, s40
	s_add_u32 s40, s4, s5
	s_cselect_b64 s[4:5], -1, 0
	s_cmp_lg_u64 s[4:5], 0
	s_addc_u32 s38, s38, s39
	s_mul_i32 s4, s25, s38
	s_mul_hi_u32 s5, s25, s40
	s_add_i32 s4, s5, s4
	s_mul_i32 s35, s35, s40
	s_add_i32 s4, s4, s35
	s_mul_i32 s25, s25, s40
	s_mul_hi_u32 s35, s38, s25
	s_mul_i32 s39, s38, s25
	s_mul_i32 s58, s40, s4
	s_mul_hi_u32 s25, s40, s25
	s_mul_hi_u32 s41, s40, s4
	s_add_u32 s25, s25, s58
	s_addc_u32 s41, 0, s41
	s_add_u32 s25, s25, s39
	s_mul_hi_u32 s5, s38, s4
	s_addc_u32 s25, s41, s35
	s_addc_u32 s5, s5, 0
	s_mul_i32 s4, s38, s4
	s_add_u32 s4, s25, s4
	s_addc_u32 s25, 0, s5
	s_add_u32 s35, s40, s4
	s_cselect_b64 s[4:5], -1, 0
	s_cmp_lg_u64 s[4:5], 0
	v_add_co_u32_e32 v7, vcc, v9, v11
	s_addc_u32 s25, s38, s25
	v_xor_b32_e32 v12, v7, v11
	v_addc_co_u32_e32 v9, vcc, v10, v11, vcc
	v_mad_u64_u32 v[7:8], s[4:5], v12, s25, 0
	v_mul_hi_u32 v10, v12, s35
	v_xor_b32_e32 v13, v9, v11
	v_add_co_u32_e32 v14, vcc, v10, v7
	v_addc_co_u32_e32 v15, vcc, 0, v8, vcc
	v_mad_u64_u32 v[7:8], s[4:5], v13, s35, 0
	v_mad_u64_u32 v[9:10], s[4:5], v13, s25, 0
	v_add_co_u32_e32 v7, vcc, v14, v7
	v_addc_co_u32_e32 v7, vcc, v15, v8, vcc
	v_addc_co_u32_e32 v8, vcc, 0, v10, vcc
	v_add_co_u32_e32 v9, vcc, v7, v9
	v_addc_co_u32_e32 v10, vcc, 0, v8, vcc
	v_mul_lo_u32 v14, s37, v9
	v_mul_lo_u32 v15, s36, v10
	v_mad_u64_u32 v[7:8], s[4:5], s36, v9, 0
	v_add3_u32 v8, v8, v15, v14
	v_sub_u32_e32 v14, v13, v8
	v_mov_b32_e32 v15, s37
	v_sub_co_u32_e32 v7, vcc, v12, v7
	v_subb_co_u32_e64 v12, s[4:5], v14, v15, vcc
	v_subrev_co_u32_e64 v14, s[4:5], s36, v7
	v_subbrev_co_u32_e64 v12, s[4:5], 0, v12, s[4:5]
	v_cmp_le_u32_e64 s[4:5], s37, v12
	v_cndmask_b32_e64 v15, 0, -1, s[4:5]
	v_cmp_le_u32_e64 s[4:5], s36, v14
	v_cndmask_b32_e64 v14, 0, -1, s[4:5]
	v_cmp_eq_u32_e64 s[4:5], s37, v12
	v_cndmask_b32_e64 v12, v15, v14, s[4:5]
	v_add_co_u32_e64 v14, s[4:5], 2, v9
	v_subb_co_u32_e32 v8, vcc, v13, v8, vcc
	v_addc_co_u32_e64 v15, s[4:5], 0, v10, s[4:5]
	v_cmp_le_u32_e32 vcc, s37, v8
	v_add_co_u32_e64 v16, s[4:5], 1, v9
	v_cndmask_b32_e64 v13, 0, -1, vcc
	v_cmp_le_u32_e32 vcc, s36, v7
	v_addc_co_u32_e64 v26, s[4:5], 0, v10, s[4:5]
	v_cndmask_b32_e64 v7, 0, -1, vcc
	v_cmp_eq_u32_e32 vcc, s37, v8
	v_cmp_ne_u32_e64 s[4:5], 0, v12
	v_cndmask_b32_e32 v7, v13, v7, vcc
	v_cndmask_b32_e64 v12, v26, v15, s[4:5]
	v_cmp_ne_u32_e32 vcc, 0, v7
	v_cndmask_b32_e64 v8, v16, v14, s[4:5]
	v_cndmask_b32_e32 v7, v10, v12, vcc
	v_cndmask_b32_e32 v8, v9, v8, vcc
	v_xor_b32_e32 v9, s34, v11
	v_xor_b32_e32 v10, v7, v9
	v_xor_b32_e32 v7, v8, v9
	v_sub_co_u32_e32 v7, vcc, v7, v9
	v_subb_co_u32_e32 v8, vcc, v10, v9, vcc
                                        ; implicit-def: $vgpr9_vgpr10
.LBB0_34:                               ;   in Loop: Header=BB0_28 Depth=2
	s_andn2_saveexec_b64 s[4:5], s[6:7]
	s_cbranch_execz .LBB0_36
; %bb.35:                               ;   in Loop: Header=BB0_28 Depth=2
	v_cvt_f32_u32_e32 v7, s43
	s_sub_i32 s6, 0, s43
	v_rcp_iflag_f32_e32 v7, v7
	v_mul_f32_e32 v7, 0x4f7ffffe, v7
	v_cvt_u32_f32_e32 v7, v7
	v_mul_lo_u32 v8, s6, v7
	v_mul_hi_u32 v8, v7, v8
	v_add_u32_e32 v7, v7, v8
	v_mul_hi_u32 v7, v9, v7
	v_mul_lo_u32 v8, v7, s43
	v_add_u32_e32 v10, 1, v7
	v_sub_u32_e32 v8, v9, v8
	v_subrev_u32_e32 v9, s43, v8
	v_cmp_le_u32_e32 vcc, s43, v8
	v_cndmask_b32_e32 v8, v8, v9, vcc
	v_cndmask_b32_e32 v7, v7, v10, vcc
	v_add_u32_e32 v9, 1, v7
	v_cmp_le_u32_e32 vcc, s43, v8
	v_cndmask_b32_e32 v7, v7, v9, vcc
	v_mov_b32_e32 v8, v2
.LBB0_36:                               ;   in Loop: Header=BB0_28 Depth=2
	s_or_b64 exec, exec, s[4:5]
	v_add_u32_e32 v11, 1, v1
	v_mad_u64_u32 v[9:10], s[4:5], v11, s18, -1
	v_mad_u64_u32 v[10:11], s[4:5], v11, s51, v[10:11]
	v_mov_b32_e32 v11, v2
	v_or_b32_e32 v12, s42, v10
	v_cmp_ne_u64_e32 vcc, 0, v[11:12]
                                        ; implicit-def: $vgpr11_vgpr12
	s_and_saveexec_b64 s[4:5], vcc
	s_xor_b64 s[6:7], exec, s[4:5]
	s_cbranch_execz .LBB0_38
; %bb.37:                               ;   in Loop: Header=BB0_28 Depth=2
	s_ashr_i32 s34, s42, 31
	s_add_u32 s4, s43, s34
	s_mov_b32 s35, s34
	s_addc_u32 s5, s42, s34
	s_xor_b64 s[36:37], s[4:5], s[34:35]
	v_cvt_f32_u32_e32 v11, s36
	v_cvt_f32_u32_e32 v12, s37
	s_sub_u32 s25, 0, s36
	s_subb_u32 s35, 0, s37
	v_ashrrev_i32_e32 v13, 31, v10
	v_mac_f32_e32 v11, 0x4f800000, v12
	v_rcp_f32_e32 v11, v11
	v_add_co_u32_e32 v9, vcc, v9, v13
	v_xor_b32_e32 v14, v9, v13
	v_mul_f32_e32 v11, 0x5f7ffffc, v11
	v_mul_f32_e32 v12, 0x2f800000, v11
	v_trunc_f32_e32 v12, v12
	v_mac_f32_e32 v11, 0xcf800000, v12
	v_cvt_u32_f32_e32 v12, v12
	v_cvt_u32_f32_e32 v11, v11
	v_readfirstlane_b32 s38, v12
	v_readfirstlane_b32 s4, v11
	s_mul_i32 s5, s25, s38
	s_mul_hi_u32 s40, s25, s4
	s_mul_i32 s39, s35, s4
	s_add_i32 s5, s40, s5
	s_add_i32 s5, s5, s39
	s_mul_i32 s41, s25, s4
	s_mul_i32 s40, s4, s5
	s_mul_hi_u32 s58, s4, s41
	s_mul_hi_u32 s39, s4, s5
	s_add_u32 s40, s58, s40
	s_addc_u32 s39, 0, s39
	s_mul_hi_u32 s59, s38, s41
	s_mul_i32 s41, s38, s41
	s_add_u32 s40, s40, s41
	s_mul_hi_u32 s58, s38, s5
	s_addc_u32 s39, s39, s59
	s_addc_u32 s40, s58, 0
	s_mul_i32 s5, s38, s5
	s_add_u32 s5, s39, s5
	s_addc_u32 s39, 0, s40
	s_add_u32 s40, s4, s5
	s_cselect_b64 s[4:5], -1, 0
	s_cmp_lg_u64 s[4:5], 0
	s_addc_u32 s38, s38, s39
	s_mul_i32 s4, s25, s38
	s_mul_hi_u32 s5, s25, s40
	s_add_i32 s4, s5, s4
	s_mul_i32 s35, s35, s40
	s_add_i32 s4, s4, s35
	s_mul_i32 s25, s25, s40
	s_mul_hi_u32 s35, s38, s25
	s_mul_i32 s39, s38, s25
	s_mul_i32 s58, s40, s4
	s_mul_hi_u32 s25, s40, s25
	s_mul_hi_u32 s41, s40, s4
	s_add_u32 s25, s25, s58
	s_addc_u32 s41, 0, s41
	s_add_u32 s25, s25, s39
	s_mul_hi_u32 s5, s38, s4
	s_addc_u32 s25, s41, s35
	s_addc_u32 s5, s5, 0
	s_mul_i32 s4, s38, s4
	s_add_u32 s4, s25, s4
	s_addc_u32 s25, 0, s5
	s_add_u32 s35, s40, s4
	s_cselect_b64 s[4:5], -1, 0
	s_cmp_lg_u64 s[4:5], 0
	s_addc_u32 s25, s38, s25
	v_addc_co_u32_e32 v11, vcc, v10, v13, vcc
	v_mad_u64_u32 v[9:10], s[4:5], v14, s25, 0
	v_mul_hi_u32 v12, v14, s35
	v_xor_b32_e32 v15, v11, v13
	v_add_co_u32_e32 v16, vcc, v12, v9
	v_addc_co_u32_e32 v26, vcc, 0, v10, vcc
	v_mad_u64_u32 v[9:10], s[4:5], v15, s35, 0
	v_mad_u64_u32 v[11:12], s[4:5], v15, s25, 0
	v_add_co_u32_e32 v9, vcc, v16, v9
	v_addc_co_u32_e32 v9, vcc, v26, v10, vcc
	v_addc_co_u32_e32 v10, vcc, 0, v12, vcc
	v_add_co_u32_e32 v11, vcc, v9, v11
	v_addc_co_u32_e32 v9, vcc, 0, v10, vcc
	v_mul_lo_u32 v12, s37, v11
	v_mul_lo_u32 v16, s36, v9
	v_mad_u64_u32 v[9:10], s[4:5], s36, v11, 0
	v_add3_u32 v10, v10, v16, v12
	v_sub_u32_e32 v12, v15, v10
	v_mov_b32_e32 v16, s37
	v_sub_co_u32_e32 v9, vcc, v14, v9
	v_subb_co_u32_e64 v12, s[4:5], v12, v16, vcc
	v_subrev_co_u32_e64 v14, s[4:5], s36, v9
	v_subbrev_co_u32_e64 v12, s[4:5], 0, v12, s[4:5]
	v_cmp_le_u32_e64 s[4:5], s37, v12
	v_subb_co_u32_e32 v10, vcc, v15, v10, vcc
	v_cndmask_b32_e64 v16, 0, -1, s[4:5]
	v_cmp_le_u32_e64 s[4:5], s36, v14
	v_cmp_le_u32_e32 vcc, s37, v10
	v_cndmask_b32_e64 v14, 0, -1, s[4:5]
	v_cmp_eq_u32_e64 s[4:5], s37, v12
	v_cndmask_b32_e64 v15, 0, -1, vcc
	v_cmp_le_u32_e32 vcc, s36, v9
	v_cndmask_b32_e64 v12, v16, v14, s[4:5]
	v_cndmask_b32_e64 v9, 0, -1, vcc
	v_cmp_eq_u32_e32 vcc, s37, v10
	v_add_co_u32_e64 v14, s[4:5], 2, v11
	v_add_co_u32_e64 v16, s[4:5], 1, v11
	v_cndmask_b32_e32 v9, v15, v9, vcc
	v_cmp_ne_u32_e32 vcc, 0, v12
	v_cndmask_b32_e32 v10, v16, v14, vcc
	v_cmp_ne_u32_e32 vcc, 0, v9
	v_cndmask_b32_e32 v9, v11, v10, vcc
	v_xor_b32_e32 v10, s34, v13
	v_xor_b32_e32 v9, v9, v10
	v_sub_co_u32_e32 v11, vcc, v9, v10
                                        ; implicit-def: $vgpr9_vgpr10
.LBB0_38:                               ;   in Loop: Header=BB0_28 Depth=2
	s_andn2_saveexec_b64 s[4:5], s[6:7]
	s_cbranch_execz .LBB0_40
; %bb.39:                               ;   in Loop: Header=BB0_28 Depth=2
	v_cvt_f32_u32_e32 v10, s43
	s_sub_i32 s6, 0, s43
	v_rcp_iflag_f32_e32 v10, v10
	v_mul_f32_e32 v10, 0x4f7ffffe, v10
	v_cvt_u32_f32_e32 v10, v10
	v_mul_lo_u32 v11, s6, v10
	v_mul_hi_u32 v11, v10, v11
	v_add_u32_e32 v10, v10, v11
	v_mul_hi_u32 v10, v9, v10
	v_mul_lo_u32 v11, v10, s43
	v_add_u32_e32 v12, 1, v10
	v_sub_u32_e32 v9, v9, v11
	v_subrev_u32_e32 v11, s43, v9
	v_cmp_le_u32_e32 vcc, s43, v9
	v_cndmask_b32_e32 v9, v9, v11, vcc
	v_cndmask_b32_e32 v10, v10, v12, vcc
	v_add_u32_e32 v11, 1, v10
	v_cmp_le_u32_e32 vcc, s43, v9
	v_cndmask_b32_e32 v11, v10, v11, vcc
.LBB0_40:                               ;   in Loop: Header=BB0_28 Depth=2
	s_or_b64 exec, exec, s[4:5]
	v_mad_u64_u32 v[12:13], s[4:5], v6, s18, v[7:8]
	s_andn2_b64 vcc, exec, s[22:23]
	v_add_u32_e32 v8, v25, v12
	v_ashrrev_i32_e32 v9, 31, v8
	s_cbranch_vccnz .LBB0_26
; %bb.41:                               ;   in Loop: Header=BB0_28 Depth=2
	v_sub_u32_e32 v10, v11, v12
	v_ashrrev_i32_e32 v13, 31, v12
	v_add_u32_e32 v26, 1, v10
	v_mad_u64_u32 v[10:11], s[4:5], s14, v12, v[3:4]
	v_mul_lo_u32 v14, s15, v12
	v_mul_lo_u32 v15, s14, v13
	v_add_u32_e32 v6, v5, v6
	v_mad_u64_u32 v[12:13], s[4:5], s18, v6, v[7:8]
	v_mov_b32_e32 v6, 0
	s_mov_b32 s25, 0
	v_cmp_lt_i32_e32 vcc, 0, v26
	v_mov_b32_e32 v7, 0xfff00000
	v_add3_u32 v11, v14, v11, v15
	s_branch .LBB0_44
.LBB0_42:                               ;   in Loop: Header=BB0_44 Depth=3
	s_or_b64 exec, exec, s[36:37]
.LBB0_43:                               ;   in Loop: Header=BB0_44 Depth=3
	s_or_b64 exec, exec, s[34:35]
	s_add_i32 s25, s25, 1
	v_mov_b32_e32 v13, s11
	v_add_co_u32_e64 v10, s[4:5], s10, v10
	v_addc_co_u32_e64 v11, s[4:5], v11, v13, s[4:5]
	s_cmp_lt_i32 s25, s16
	v_add_u32_e32 v12, s57, v12
	s_cbranch_scc0 .LBB0_27
.LBB0_44:                               ;   Parent Loop BB0_12 Depth=1
                                        ;     Parent Loop BB0_28 Depth=2
                                        ; =>    This Loop Header: Depth=3
                                        ;         Child Loop BB0_47 Depth 4
                                        ;           Child Loop BB0_49 Depth 5
	s_and_saveexec_b64 s[34:35], s[2:3]
	s_cbranch_execz .LBB0_43
; %bb.45:                               ;   in Loop: Header=BB0_44 Depth=3
	v_mov_b32_e32 v14, v11
	s_mov_b32 s58, 0
	s_mov_b64 s[36:37], 0
	v_mov_b32_e32 v27, v12
	v_mov_b32_e32 v13, v10
	s_branch .LBB0_47
.LBB0_46:                               ;   in Loop: Header=BB0_47 Depth=4
	s_or_b64 exec, exec, s[38:39]
	v_mov_b32_e32 v15, s13
	v_add_co_u32_e64 v13, s[4:5], s12, v13
	s_add_i32 s58, s58, 1
	v_addc_co_u32_e64 v14, s[4:5], v14, v15, s[4:5]
	v_cmp_ge_i32_e64 s[4:5], s58, v20
	s_or_b64 s[36:37], s[4:5], s[36:37]
	v_add_u32_e32 v27, s18, v27
	s_andn2_b64 exec, exec, s[36:37]
	s_cbranch_execz .LBB0_42
.LBB0_47:                               ;   Parent Loop BB0_12 Depth=1
                                        ;     Parent Loop BB0_28 Depth=2
                                        ;       Parent Loop BB0_44 Depth=3
                                        ; =>      This Loop Header: Depth=4
                                        ;           Child Loop BB0_49 Depth 5
	s_and_saveexec_b64 s[38:39], vcc
	s_cbranch_execz .LBB0_46
; %bb.48:                               ;   in Loop: Header=BB0_47 Depth=4
	v_mov_b32_e32 v16, v14
	s_mov_b32 s59, 0
	s_mov_b64 s[40:41], 0
	v_mov_b32_e32 v15, v13
.LBB0_49:                               ;   Parent Loop BB0_12 Depth=1
                                        ;     Parent Loop BB0_28 Depth=2
                                        ;       Parent Loop BB0_44 Depth=3
                                        ;         Parent Loop BB0_47 Depth=4
                                        ; =>        This Inner Loop Header: Depth=5
	global_load_dwordx2 v[28:29], v[15:16], off
	v_add_u32_e32 v30, s59, v27
	v_ashrrev_i32_e32 v31, 31, v30
	s_add_i32 s59, s59, 1
	s_waitcnt vmcnt(0)
	v_cmp_gt_f64_e64 s[4:5], v[28:29], v[6:7]
	v_cmp_u_f64_e64 s[6:7], v[28:29], v[28:29]
	s_or_b64 s[4:5], s[4:5], s[6:7]
	v_cndmask_b32_e64 v9, v9, v31, s[4:5]
	v_cndmask_b32_e64 v8, v8, v30, s[4:5]
	v_cndmask_b32_e64 v7, v7, v29, s[4:5]
	v_cndmask_b32_e64 v6, v6, v28, s[4:5]
	v_add_co_u32_e64 v15, s[4:5], s14, v15
	v_mov_b32_e32 v28, s15
	v_addc_co_u32_e64 v16, s[4:5], v16, v28, s[4:5]
	v_cmp_ge_i32_e64 s[4:5], s59, v26
	s_or_b64 s[40:41], s[4:5], s[40:41]
	s_andn2_b64 exec, exec, s[40:41]
	s_cbranch_execnz .LBB0_49
; %bb.50:                               ;   in Loop: Header=BB0_47 Depth=4
	s_or_b64 exec, exec, s[40:41]
	s_branch .LBB0_46
.LBB0_51:
	s_endpgm
.LBB0_52:
                                        ; implicit-def: $sgpr24_sgpr25
	s_branch .LBB0_2
.LBB0_53:
                                        ; implicit-def: $sgpr26_sgpr27
	s_branch .LBB0_5
.LBB0_54:
                                        ; implicit-def: $sgpr28_sgpr29
	s_load_dword s29, s[4:5], 0x64
	s_andn2_b64 vcc, exec, s[8:9]
	s_cbranch_vccz .LBB0_8
	s_branch .LBB0_9
	.section	.rodata,"a",@progbits
	.p2align	6, 0x0
	.amdhsa_kernel _ZN2at6native12_GLOBAL__N_115adaptivemaxpoolIdEEvPKT_PS3_Pliiiiiilllll
		.amdhsa_group_segment_fixed_size 0
		.amdhsa_private_segment_fixed_size 0
		.amdhsa_kernarg_size 344
		.amdhsa_user_sgpr_count 6
		.amdhsa_user_sgpr_private_segment_buffer 1
		.amdhsa_user_sgpr_dispatch_ptr 0
		.amdhsa_user_sgpr_queue_ptr 0
		.amdhsa_user_sgpr_kernarg_segment_ptr 1
		.amdhsa_user_sgpr_dispatch_id 0
		.amdhsa_user_sgpr_flat_scratch_init 0
		.amdhsa_user_sgpr_private_segment_size 0
		.amdhsa_uses_dynamic_stack 0
		.amdhsa_system_sgpr_private_segment_wavefront_offset 0
		.amdhsa_system_sgpr_workgroup_id_x 1
		.amdhsa_system_sgpr_workgroup_id_y 1
		.amdhsa_system_sgpr_workgroup_id_z 0
		.amdhsa_system_sgpr_workgroup_info 0
		.amdhsa_system_vgpr_workitem_id 1
		.amdhsa_next_free_vgpr 32
		.amdhsa_next_free_sgpr 60
		.amdhsa_reserve_vcc 1
		.amdhsa_reserve_flat_scratch 0
		.amdhsa_float_round_mode_32 0
		.amdhsa_float_round_mode_16_64 0
		.amdhsa_float_denorm_mode_32 3
		.amdhsa_float_denorm_mode_16_64 3
		.amdhsa_dx10_clamp 1
		.amdhsa_ieee_mode 1
		.amdhsa_fp16_overflow 0
		.amdhsa_exception_fp_ieee_invalid_op 0
		.amdhsa_exception_fp_denorm_src 0
		.amdhsa_exception_fp_ieee_div_zero 0
		.amdhsa_exception_fp_ieee_overflow 0
		.amdhsa_exception_fp_ieee_underflow 0
		.amdhsa_exception_fp_ieee_inexact 0
		.amdhsa_exception_int_div_zero 0
	.end_amdhsa_kernel
	.section	.text._ZN2at6native12_GLOBAL__N_115adaptivemaxpoolIdEEvPKT_PS3_Pliiiiiilllll,"axG",@progbits,_ZN2at6native12_GLOBAL__N_115adaptivemaxpoolIdEEvPKT_PS3_Pliiiiiilllll,comdat
.Lfunc_end0:
	.size	_ZN2at6native12_GLOBAL__N_115adaptivemaxpoolIdEEvPKT_PS3_Pliiiiiilllll, .Lfunc_end0-_ZN2at6native12_GLOBAL__N_115adaptivemaxpoolIdEEvPKT_PS3_Pliiiiiilllll
                                        ; -- End function
	.set _ZN2at6native12_GLOBAL__N_115adaptivemaxpoolIdEEvPKT_PS3_Pliiiiiilllll.num_vgpr, 32
	.set _ZN2at6native12_GLOBAL__N_115adaptivemaxpoolIdEEvPKT_PS3_Pliiiiiilllll.num_agpr, 0
	.set _ZN2at6native12_GLOBAL__N_115adaptivemaxpoolIdEEvPKT_PS3_Pliiiiiilllll.numbered_sgpr, 60
	.set _ZN2at6native12_GLOBAL__N_115adaptivemaxpoolIdEEvPKT_PS3_Pliiiiiilllll.num_named_barrier, 0
	.set _ZN2at6native12_GLOBAL__N_115adaptivemaxpoolIdEEvPKT_PS3_Pliiiiiilllll.private_seg_size, 0
	.set _ZN2at6native12_GLOBAL__N_115adaptivemaxpoolIdEEvPKT_PS3_Pliiiiiilllll.uses_vcc, 1
	.set _ZN2at6native12_GLOBAL__N_115adaptivemaxpoolIdEEvPKT_PS3_Pliiiiiilllll.uses_flat_scratch, 0
	.set _ZN2at6native12_GLOBAL__N_115adaptivemaxpoolIdEEvPKT_PS3_Pliiiiiilllll.has_dyn_sized_stack, 0
	.set _ZN2at6native12_GLOBAL__N_115adaptivemaxpoolIdEEvPKT_PS3_Pliiiiiilllll.has_recursion, 0
	.set _ZN2at6native12_GLOBAL__N_115adaptivemaxpoolIdEEvPKT_PS3_Pliiiiiilllll.has_indirect_call, 0
	.section	.AMDGPU.csdata,"",@progbits
; Kernel info:
; codeLenInByte = 7264
; TotalNumSgprs: 64
; NumVgprs: 32
; ScratchSize: 0
; MemoryBound: 0
; FloatMode: 240
; IeeeMode: 1
; LDSByteSize: 0 bytes/workgroup (compile time only)
; SGPRBlocks: 7
; VGPRBlocks: 7
; NumSGPRsForWavesPerEU: 64
; NumVGPRsForWavesPerEU: 32
; Occupancy: 8
; WaveLimiterHint : 0
; COMPUTE_PGM_RSRC2:SCRATCH_EN: 0
; COMPUTE_PGM_RSRC2:USER_SGPR: 6
; COMPUTE_PGM_RSRC2:TRAP_HANDLER: 0
; COMPUTE_PGM_RSRC2:TGID_X_EN: 1
; COMPUTE_PGM_RSRC2:TGID_Y_EN: 1
; COMPUTE_PGM_RSRC2:TGID_Z_EN: 0
; COMPUTE_PGM_RSRC2:TIDIG_COMP_CNT: 1
	.section	.text._ZN2at6native12_GLOBAL__N_115adaptivemaxpoolIfEEvPKT_PS3_Pliiiiiilllll,"axG",@progbits,_ZN2at6native12_GLOBAL__N_115adaptivemaxpoolIfEEvPKT_PS3_Pliiiiiilllll,comdat
	.globl	_ZN2at6native12_GLOBAL__N_115adaptivemaxpoolIfEEvPKT_PS3_Pliiiiiilllll ; -- Begin function _ZN2at6native12_GLOBAL__N_115adaptivemaxpoolIfEEvPKT_PS3_Pliiiiiilllll
	.p2align	8
	.type	_ZN2at6native12_GLOBAL__N_115adaptivemaxpoolIfEEvPKT_PS3_Pliiiiiilllll,@function
_ZN2at6native12_GLOBAL__N_115adaptivemaxpoolIfEEvPKT_PS3_Pliiiiiilllll: ; @_ZN2at6native12_GLOBAL__N_115adaptivemaxpoolIfEEvPKT_PS3_Pliiiiiilllll
; %bb.0:
	s_load_dwordx2 s[0:1], s[4:5], 0x50
	s_load_dwordx4 s[16:19], s[4:5], 0x18
	s_load_dwordx2 s[24:25], s[4:5], 0x28
	s_mov_b32 s8, 0
	s_waitcnt lgkmcnt(0)
	s_add_u32 s0, s0, s6
	s_addc_u32 s1, s1, 0
	s_ashr_i32 s3, s19, 31
	s_mov_b32 s2, s19
	s_or_b64 s[10:11], s[0:1], s[2:3]
	s_mov_b32 s9, s11
	s_cmp_lg_u64 s[8:9], 0
	s_cbranch_scc0 .LBB1_52
; %bb.1:
	s_ashr_i32 s8, s3, 31
	s_add_u32 s10, s2, s8
	s_mov_b32 s9, s8
	s_addc_u32 s11, s3, s8
	s_xor_b64 s[12:13], s[10:11], s[8:9]
	v_cvt_f32_u32_e32 v2, s12
	v_cvt_f32_u32_e32 v3, s13
	s_sub_u32 s6, 0, s12
	s_subb_u32 s19, 0, s13
	v_madmk_f32 v2, v3, 0x4f800000, v2
	v_rcp_f32_e32 v2, v2
	v_mul_f32_e32 v2, 0x5f7ffffc, v2
	v_mul_f32_e32 v3, 0x2f800000, v2
	v_trunc_f32_e32 v3, v3
	v_madmk_f32 v2, v3, 0xcf800000, v2
	v_cvt_u32_f32_e32 v3, v3
	v_cvt_u32_f32_e32 v2, v2
	v_readfirstlane_b32 s20, v3
	v_readfirstlane_b32 s14, v2
	s_mul_i32 s15, s6, s20
	s_mul_hi_u32 s22, s6, s14
	s_mul_i32 s21, s19, s14
	s_add_i32 s15, s22, s15
	s_add_i32 s15, s15, s21
	s_mul_i32 s23, s6, s14
	s_mul_i32 s22, s14, s15
	s_mul_hi_u32 s26, s14, s23
	s_mul_hi_u32 s21, s14, s15
	s_add_u32 s22, s26, s22
	s_addc_u32 s21, 0, s21
	s_mul_hi_u32 s27, s20, s23
	s_mul_i32 s23, s20, s23
	s_add_u32 s22, s22, s23
	s_mul_hi_u32 s26, s20, s15
	s_addc_u32 s21, s21, s27
	s_addc_u32 s22, s26, 0
	s_mul_i32 s15, s20, s15
	s_add_u32 s15, s21, s15
	s_addc_u32 s21, 0, s22
	s_add_u32 s22, s14, s15
	s_cselect_b64 s[14:15], -1, 0
	s_cmp_lg_u64 s[14:15], 0
	s_addc_u32 s20, s20, s21
	s_mul_i32 s14, s6, s20
	s_mul_hi_u32 s15, s6, s22
	s_add_i32 s14, s15, s14
	s_mul_i32 s19, s19, s22
	s_add_i32 s14, s14, s19
	s_mul_i32 s6, s6, s22
	s_mul_hi_u32 s19, s20, s6
	s_mul_i32 s21, s20, s6
	s_mul_i32 s26, s22, s14
	s_mul_hi_u32 s6, s22, s6
	s_mul_hi_u32 s23, s22, s14
	s_add_u32 s6, s6, s26
	s_addc_u32 s23, 0, s23
	s_add_u32 s6, s6, s21
	s_mul_hi_u32 s15, s20, s14
	s_addc_u32 s6, s23, s19
	s_addc_u32 s15, s15, 0
	s_mul_i32 s14, s20, s14
	s_add_u32 s6, s6, s14
	s_addc_u32 s19, 0, s15
	s_add_u32 s6, s22, s6
	s_cselect_b64 s[14:15], -1, 0
	s_cmp_lg_u64 s[14:15], 0
	s_addc_u32 s19, s20, s19
	s_ashr_i32 s14, s1, 31
	s_add_u32 s20, s0, s14
	s_mov_b32 s15, s14
	s_addc_u32 s21, s1, s14
	s_xor_b64 s[20:21], s[20:21], s[14:15]
	s_mul_i32 s23, s20, s19
	s_mul_hi_u32 s26, s20, s6
	s_mul_hi_u32 s22, s20, s19
	s_add_u32 s23, s26, s23
	s_addc_u32 s22, 0, s22
	s_mul_hi_u32 s27, s21, s6
	s_mul_i32 s6, s21, s6
	s_add_u32 s6, s23, s6
	s_mul_hi_u32 s26, s21, s19
	s_addc_u32 s6, s22, s27
	s_addc_u32 s22, s26, 0
	s_mul_i32 s19, s21, s19
	s_add_u32 s6, s6, s19
	s_addc_u32 s19, 0, s22
	s_mul_i32 s22, s12, s19
	s_mul_hi_u32 s23, s12, s6
	s_add_i32 s22, s23, s22
	s_mul_i32 s23, s13, s6
	s_add_i32 s28, s22, s23
	s_sub_i32 s26, s21, s28
	s_mul_i32 s22, s12, s6
	s_sub_u32 s20, s20, s22
	s_cselect_b64 s[22:23], -1, 0
	s_cmp_lg_u64 s[22:23], 0
	s_subb_u32 s29, s26, s13
	s_sub_u32 s30, s20, s12
	s_cselect_b64 s[26:27], -1, 0
	s_cmp_lg_u64 s[26:27], 0
	s_subb_u32 s26, s29, 0
	s_cmp_ge_u32 s26, s13
	s_cselect_b32 s27, -1, 0
	s_cmp_ge_u32 s30, s12
	s_cselect_b32 s29, -1, 0
	s_cmp_eq_u32 s26, s13
	s_cselect_b32 s26, s29, s27
	s_add_u32 s27, s6, 1
	s_addc_u32 s29, s19, 0
	s_add_u32 s30, s6, 2
	s_addc_u32 s31, s19, 0
	s_cmp_lg_u32 s26, 0
	s_cselect_b32 s26, s30, s27
	s_cselect_b32 s27, s31, s29
	s_cmp_lg_u64 s[22:23], 0
	s_subb_u32 s21, s21, s28
	s_cmp_ge_u32 s21, s13
	s_cselect_b32 s22, -1, 0
	s_cmp_ge_u32 s20, s12
	s_cselect_b32 s12, -1, 0
	s_cmp_eq_u32 s21, s13
	s_cselect_b32 s12, s12, s22
	s_cmp_lg_u32 s12, 0
	s_cselect_b32 s13, s27, s19
	s_cselect_b32 s12, s26, s6
	s_xor_b64 s[8:9], s[14:15], s[8:9]
	s_xor_b64 s[12:13], s[12:13], s[8:9]
	s_sub_u32 s28, s12, s8
	s_subb_u32 s29, s13, s9
	s_cbranch_execnz .LBB1_3
.LBB1_2:
	v_cvt_f32_u32_e32 v2, s2
	s_sub_i32 s6, 0, s2
	s_mov_b32 s29, 0
	v_rcp_iflag_f32_e32 v2, v2
	v_mul_f32_e32 v2, 0x4f7ffffe, v2
	v_cvt_u32_f32_e32 v2, v2
	v_readfirstlane_b32 s8, v2
	s_mul_i32 s6, s6, s8
	s_mul_hi_u32 s6, s8, s6
	s_add_i32 s8, s8, s6
	s_mul_hi_u32 s6, s0, s8
	s_mul_i32 s9, s6, s2
	s_sub_i32 s9, s0, s9
	s_add_i32 s8, s6, 1
	s_sub_i32 s10, s9, s2
	s_cmp_ge_u32 s9, s2
	s_cselect_b32 s6, s8, s6
	s_cselect_b32 s9, s10, s9
	s_add_i32 s8, s6, 1
	s_cmp_ge_u32 s9, s2
	s_cselect_b32 s28, s8, s6
.LBB1_3:
	s_mul_i32 s6, s28, s3
	s_mul_hi_u32 s8, s28, s2
	s_add_i32 s6, s8, s6
	s_mul_i32 s8, s29, s2
	s_add_i32 s6, s6, s8
	s_mul_i32 s8, s28, s2
	s_sub_u32 s20, s0, s8
	s_subb_u32 s21, s1, s6
	s_abs_i32 s8, s2
	v_cvt_f32_u32_e32 v2, s8
	s_sub_i32 s12, 0, s8
	s_abs_i32 s11, s20
	s_xor_b32 s9, s20, s2
	v_rcp_iflag_f32_e32 v2, v2
	s_ashr_i32 s6, s16, 31
	s_ashr_i32 s9, s9, 31
	s_mov_b32 s10, 0
	v_mul_f32_e32 v2, 0x4f7ffffe, v2
	v_cvt_u32_f32_e32 v2, v2
	v_readfirstlane_b32 s13, v2
	s_mul_i32 s12, s12, s13
	s_mul_hi_u32 s12, s13, s12
	s_add_i32 s13, s13, s12
	s_mul_hi_u32 s12, s11, s13
	s_mul_i32 s13, s12, s8
	s_sub_i32 s11, s11, s13
	s_add_i32 s13, s12, 1
	s_sub_i32 s14, s11, s8
	s_cmp_ge_u32 s11, s8
	s_cselect_b32 s12, s13, s12
	s_cselect_b32 s11, s14, s11
	s_add_i32 s13, s12, 1
	s_cmp_ge_u32 s11, s8
	s_cselect_b32 s8, s13, s12
	s_xor_b32 s8, s8, s9
	s_sub_i32 s19, s8, s9
	s_mul_i32 s8, s19, s2
	s_sub_i32 s8, s20, s8
	s_mul_hi_i32 s9, s8, s16
	s_mul_i32 s8, s8, s16
	s_or_b64 s[12:13], s[8:9], s[2:3]
	s_mov_b32 s11, s13
	s_cmp_lg_u64 s[10:11], 0
	s_cbranch_scc0 .LBB1_53
; %bb.4:
	s_ashr_i32 s10, s3, 31
	s_add_u32 s12, s2, s10
	s_mov_b32 s11, s10
	s_addc_u32 s13, s3, s10
	s_xor_b64 s[14:15], s[12:13], s[10:11]
	v_cvt_f32_u32_e32 v2, s14
	v_cvt_f32_u32_e32 v3, s15
	s_sub_u32 s26, 0, s14
	s_subb_u32 s27, 0, s15
	v_madmk_f32 v2, v3, 0x4f800000, v2
	v_rcp_f32_e32 v2, v2
	v_mul_f32_e32 v2, 0x5f7ffffc, v2
	v_mul_f32_e32 v3, 0x2f800000, v2
	v_trunc_f32_e32 v3, v3
	v_madmk_f32 v2, v3, 0xcf800000, v2
	v_cvt_u32_f32_e32 v3, v3
	v_cvt_u32_f32_e32 v2, v2
	v_readfirstlane_b32 s30, v3
	v_readfirstlane_b32 s22, v2
	s_mul_i32 s23, s26, s30
	s_mul_hi_u32 s33, s26, s22
	s_mul_i32 s31, s27, s22
	s_add_i32 s23, s33, s23
	s_add_i32 s23, s23, s31
	s_mul_i32 s34, s26, s22
	s_mul_i32 s33, s22, s23
	s_mul_hi_u32 s35, s22, s34
	s_mul_hi_u32 s31, s22, s23
	s_add_u32 s33, s35, s33
	s_addc_u32 s31, 0, s31
	s_mul_hi_u32 s36, s30, s34
	s_mul_i32 s34, s30, s34
	s_add_u32 s33, s33, s34
	s_mul_hi_u32 s35, s30, s23
	s_addc_u32 s31, s31, s36
	s_addc_u32 s33, s35, 0
	s_mul_i32 s23, s30, s23
	s_add_u32 s23, s31, s23
	s_addc_u32 s31, 0, s33
	s_add_u32 s33, s22, s23
	s_cselect_b64 s[22:23], -1, 0
	s_cmp_lg_u64 s[22:23], 0
	s_addc_u32 s30, s30, s31
	s_mul_i32 s22, s26, s30
	s_mul_hi_u32 s23, s26, s33
	s_add_i32 s22, s23, s22
	s_mul_i32 s27, s27, s33
	s_add_i32 s22, s22, s27
	s_mul_i32 s26, s26, s33
	s_mul_hi_u32 s27, s30, s26
	s_mul_i32 s31, s30, s26
	s_mul_i32 s35, s33, s22
	s_mul_hi_u32 s26, s33, s26
	s_mul_hi_u32 s34, s33, s22
	s_add_u32 s26, s26, s35
	s_addc_u32 s34, 0, s34
	s_add_u32 s26, s26, s31
	s_mul_hi_u32 s23, s30, s22
	s_addc_u32 s26, s34, s27
	s_addc_u32 s23, s23, 0
	s_mul_i32 s22, s30, s22
	s_add_u32 s22, s26, s22
	s_addc_u32 s26, 0, s23
	s_add_u32 s31, s33, s22
	s_cselect_b64 s[22:23], -1, 0
	s_cmp_lg_u64 s[22:23], 0
	s_addc_u32 s30, s30, s26
	s_ashr_i32 s22, s9, 31
	s_add_u32 s26, s8, s22
	s_mov_b32 s23, s22
	s_addc_u32 s27, s9, s22
	s_xor_b64 s[26:27], s[26:27], s[22:23]
	s_mul_i32 s33, s26, s30
	s_mul_hi_u32 s34, s26, s31
	s_mul_hi_u32 s9, s26, s30
	s_add_u32 s33, s34, s33
	s_addc_u32 s9, 0, s9
	s_mul_hi_u32 s35, s27, s31
	s_mul_i32 s31, s27, s31
	s_add_u32 s31, s33, s31
	s_mul_hi_u32 s34, s27, s30
	s_addc_u32 s9, s9, s35
	s_addc_u32 s31, s34, 0
	s_mul_i32 s30, s27, s30
	s_add_u32 s9, s9, s30
	s_addc_u32 s33, 0, s31
	s_mul_i32 s30, s14, s33
	s_mul_hi_u32 s31, s14, s9
	s_add_i32 s30, s31, s30
	s_mul_i32 s31, s15, s9
	s_add_i32 s36, s30, s31
	s_sub_i32 s34, s27, s36
	s_mul_i32 s30, s14, s9
	s_sub_u32 s26, s26, s30
	s_cselect_b64 s[30:31], -1, 0
	s_cmp_lg_u64 s[30:31], 0
	s_subb_u32 s37, s34, s15
	s_sub_u32 s38, s26, s14
	s_cselect_b64 s[34:35], -1, 0
	s_cmp_lg_u64 s[34:35], 0
	s_subb_u32 s34, s37, 0
	s_cmp_ge_u32 s34, s15
	s_cselect_b32 s35, -1, 0
	s_cmp_ge_u32 s38, s14
	s_cselect_b32 s37, -1, 0
	s_cmp_eq_u32 s34, s15
	s_cselect_b32 s34, s37, s35
	s_add_u32 s35, s9, 1
	s_addc_u32 s37, s33, 0
	s_add_u32 s38, s9, 2
	s_addc_u32 s39, s33, 0
	s_cmp_lg_u32 s34, 0
	s_cselect_b32 s34, s38, s35
	s_cselect_b32 s35, s39, s37
	s_cmp_lg_u64 s[30:31], 0
	s_subb_u32 s27, s27, s36
	s_cmp_ge_u32 s27, s15
	s_cselect_b32 s30, -1, 0
	s_cmp_ge_u32 s26, s14
	s_cselect_b32 s14, -1, 0
	s_cmp_eq_u32 s27, s15
	s_cselect_b32 s14, s14, s30
	s_cmp_lg_u32 s14, 0
	s_cselect_b32 s15, s35, s33
	s_cselect_b32 s14, s34, s9
	s_xor_b64 s[10:11], s[22:23], s[10:11]
	s_xor_b64 s[14:15], s[14:15], s[10:11]
	s_sub_u32 s30, s14, s10
	s_subb_u32 s31, s15, s11
	s_cbranch_execnz .LBB1_6
.LBB1_5:
	v_cvt_f32_u32_e32 v2, s2
	s_sub_i32 s9, 0, s2
	s_mov_b32 s31, 0
	v_rcp_iflag_f32_e32 v2, v2
	v_mul_f32_e32 v2, 0x4f7ffffe, v2
	v_cvt_u32_f32_e32 v2, v2
	v_readfirstlane_b32 s10, v2
	s_mul_i32 s9, s9, s10
	s_mul_hi_u32 s9, s10, s9
	s_add_i32 s10, s10, s9
	s_mul_hi_u32 s9, s8, s10
	s_mul_i32 s11, s9, s2
	s_sub_i32 s8, s8, s11
	s_add_i32 s10, s9, 1
	s_sub_i32 s11, s8, s2
	s_cmp_ge_u32 s8, s2
	s_cselect_b32 s9, s10, s9
	s_cselect_b32 s8, s11, s8
	s_add_i32 s10, s9, 1
	s_cmp_ge_u32 s8, s2
	s_cselect_b32 s30, s10, s9
.LBB1_6:
	s_add_u32 s8, s20, 1
	s_addc_u32 s9, s21, 0
	s_mul_i32 s10, s8, s6
	s_mul_hi_u32 s11, s8, s16
	s_add_i32 s10, s11, s10
	s_mul_i32 s9, s9, s16
	s_add_i32 s10, s10, s9
	s_mul_i32 s8, s8, s16
	s_add_u32 s8, s8, -1
	s_addc_u32 s9, s10, -1
	s_or_b64 s[10:11], s[8:9], s[2:3]
	s_mov_b32 s10, 0
	s_cmp_lg_u64 s[10:11], 0
	s_mov_b64 s[10:11], -1
	s_cbranch_scc0 .LBB1_54
; %bb.7:
	s_ashr_i32 s12, s3, 31
	s_add_u32 s10, s2, s12
	s_mov_b32 s13, s12
	s_addc_u32 s11, s3, s12
	s_xor_b64 s[14:15], s[10:11], s[12:13]
	v_cvt_f32_u32_e32 v2, s14
	v_cvt_f32_u32_e32 v3, s15
	s_sub_u32 s3, 0, s14
	s_subb_u32 s22, 0, s15
	v_madmk_f32 v2, v3, 0x4f800000, v2
	v_rcp_f32_e32 v2, v2
	v_mul_f32_e32 v2, 0x5f7ffffc, v2
	v_mul_f32_e32 v3, 0x2f800000, v2
	v_trunc_f32_e32 v3, v3
	v_madmk_f32 v2, v3, 0xcf800000, v2
	v_cvt_u32_f32_e32 v3, v3
	v_cvt_u32_f32_e32 v2, v2
	v_readfirstlane_b32 s23, v3
	v_readfirstlane_b32 s20, v2
	s_mul_i32 s21, s3, s23
	s_mul_hi_u32 s27, s3, s20
	s_mul_i32 s26, s22, s20
	s_add_i32 s21, s27, s21
	s_add_i32 s21, s21, s26
	s_mul_i32 s33, s3, s20
	s_mul_i32 s27, s20, s21
	s_mul_hi_u32 s34, s20, s33
	s_mul_hi_u32 s26, s20, s21
	s_add_u32 s27, s34, s27
	s_addc_u32 s26, 0, s26
	s_mul_hi_u32 s35, s23, s33
	s_mul_i32 s33, s23, s33
	s_add_u32 s27, s27, s33
	s_mul_hi_u32 s34, s23, s21
	s_addc_u32 s26, s26, s35
	s_addc_u32 s27, s34, 0
	s_mul_i32 s21, s23, s21
	s_add_u32 s21, s26, s21
	s_addc_u32 s26, 0, s27
	s_add_u32 s27, s20, s21
	s_cselect_b64 s[20:21], -1, 0
	s_cmp_lg_u64 s[20:21], 0
	s_addc_u32 s23, s23, s26
	s_mul_i32 s20, s3, s23
	s_mul_hi_u32 s21, s3, s27
	s_add_i32 s20, s21, s20
	s_mul_i32 s22, s22, s27
	s_add_i32 s20, s20, s22
	s_mul_i32 s3, s3, s27
	s_mul_hi_u32 s22, s23, s3
	s_mul_i32 s26, s23, s3
	s_mul_i32 s34, s27, s20
	s_mul_hi_u32 s3, s27, s3
	s_mul_hi_u32 s33, s27, s20
	s_add_u32 s3, s3, s34
	s_addc_u32 s33, 0, s33
	s_add_u32 s3, s3, s26
	s_mul_hi_u32 s21, s23, s20
	s_addc_u32 s3, s33, s22
	s_addc_u32 s21, s21, 0
	s_mul_i32 s20, s23, s20
	s_add_u32 s3, s3, s20
	s_addc_u32 s22, 0, s21
	s_add_u32 s3, s27, s3
	s_cselect_b64 s[20:21], -1, 0
	s_cmp_lg_u64 s[20:21], 0
	s_addc_u32 s26, s23, s22
	s_ashr_i32 s20, s9, 31
	s_add_u32 s22, s8, s20
	s_mov_b32 s21, s20
	s_addc_u32 s23, s9, s20
	s_xor_b64 s[22:23], s[22:23], s[20:21]
	s_mul_i32 s27, s22, s26
	s_mul_hi_u32 s33, s22, s3
	s_mul_hi_u32 s9, s22, s26
	s_add_u32 s27, s33, s27
	s_addc_u32 s9, 0, s9
	s_mul_hi_u32 s34, s23, s3
	s_mul_i32 s3, s23, s3
	s_add_u32 s3, s27, s3
	s_mul_hi_u32 s33, s23, s26
	s_addc_u32 s3, s9, s34
	s_addc_u32 s9, s33, 0
	s_mul_i32 s26, s23, s26
	s_add_u32 s3, s3, s26
	s_addc_u32 s9, 0, s9
	s_mul_i32 s26, s14, s9
	s_mul_hi_u32 s27, s14, s3
	s_add_i32 s26, s27, s26
	s_mul_i32 s27, s15, s3
	s_add_i32 s33, s26, s27
	s_sub_i32 s34, s23, s33
	s_mul_i32 s26, s14, s3
	s_sub_u32 s22, s22, s26
	s_cselect_b64 s[26:27], -1, 0
	s_cmp_lg_u64 s[26:27], 0
	s_subb_u32 s36, s34, s15
	s_sub_u32 s37, s22, s14
	s_cselect_b64 s[34:35], -1, 0
	s_cmp_lg_u64 s[34:35], 0
	s_subb_u32 s34, s36, 0
	s_cmp_ge_u32 s34, s15
	s_cselect_b32 s35, -1, 0
	s_cmp_ge_u32 s37, s14
	s_cselect_b32 s36, -1, 0
	s_cmp_eq_u32 s34, s15
	s_cselect_b32 s34, s36, s35
	s_add_u32 s35, s3, 1
	s_addc_u32 s36, s9, 0
	s_add_u32 s37, s3, 2
	s_addc_u32 s38, s9, 0
	s_cmp_lg_u32 s34, 0
	s_cselect_b32 s34, s37, s35
	s_cselect_b32 s35, s38, s36
	s_cmp_lg_u64 s[26:27], 0
	s_subb_u32 s23, s23, s33
	s_cmp_ge_u32 s23, s15
	s_cselect_b32 s26, -1, 0
	s_cmp_ge_u32 s22, s14
	s_cselect_b32 s14, -1, 0
	s_cmp_eq_u32 s23, s15
	s_cselect_b32 s14, s14, s26
	s_cmp_lg_u32 s14, 0
	s_cselect_b32 s15, s35, s9
	s_cselect_b32 s14, s34, s3
	s_xor_b64 s[12:13], s[20:21], s[12:13]
	s_xor_b64 s[14:15], s[14:15], s[12:13]
	s_sub_u32 s26, s14, s12
	s_load_dword s3, s[4:5], 0x64
	s_cbranch_execnz .LBB1_9
.LBB1_8:
	v_cvt_f32_u32_e32 v2, s2
	s_sub_i32 s9, 0, s2
	v_rcp_iflag_f32_e32 v2, v2
	v_mul_f32_e32 v2, 0x4f7ffffe, v2
	v_cvt_u32_f32_e32 v2, v2
	v_readfirstlane_b32 s10, v2
	s_mul_i32 s9, s9, s10
	s_mul_hi_u32 s9, s10, s9
	s_add_i32 s10, s10, s9
	s_mul_hi_u32 s9, s8, s10
	s_mul_i32 s11, s9, s2
	s_sub_i32 s8, s8, s11
	s_add_i32 s10, s9, 1
	s_sub_i32 s11, s8, s2
	s_cmp_ge_u32 s8, s2
	s_cselect_b32 s9, s10, s9
	s_cselect_b32 s8, s11, s8
	s_add_i32 s10, s9, 1
	s_cmp_ge_u32 s8, s2
	s_cselect_b32 s26, s10, s9
.LBB1_9:
	s_waitcnt lgkmcnt(0)
	s_lshr_b32 s2, s3, 16
	s_mul_i32 s7, s7, s2
	v_add_u32_e32 v16, s7, v1
	v_cmp_gt_i32_e32 vcc, s24, v16
	s_and_saveexec_b64 s[8:9], vcc
	s_cbranch_execz .LBB1_51
; %bb.10:
	s_mul_i32 s6, s19, s6
	s_mul_hi_u32 s7, s19, s16
	s_add_i32 s7, s7, s6
	s_mul_i32 s56, s19, s16
	s_add_u32 s6, s30, s56
	s_addc_u32 s7, s31, s7
	s_load_dwordx8 s[8:15], s[4:5], 0x30
	s_load_dword s50, s[4:5], 0x5c
	s_load_dwordx4 s[20:23], s[4:5], 0x0
	s_load_dwordx2 s[34:35], s[4:5], 0x10
	s_bfe_i64 s[4:5], s[28:29], 0x200000
	s_bfe_i64 s[36:37], s[6:7], 0x200000
	s_mul_i32 s7, s25, s24
	s_sub_i32 s16, s26, s6
	s_mul_hi_i32 s4, s25, s24
	s_mul_i32 s1, s7, s1
	s_mul_hi_u32 s26, s7, s0
	s_add_i32 s1, s26, s1
	s_mul_i32 s4, s4, s0
	s_mov_b32 s33, s24
	s_add_i32 s1, s1, s4
	s_mul_i32 s0, s7, s0
	s_add_i32 s16, s16, 1
	s_ashr_i32 s19, s24, 31
	s_ashr_i32 s44, s25, 31
	s_lshl_b64 s[26:27], s[0:1], 2
	v_cvt_f32_u32_e32 v1, s33
	s_waitcnt lgkmcnt(0)
	s_add_u32 s46, s22, s26
	s_addc_u32 s47, s23, s27
	s_lshl_b64 s[0:1], s[0:1], 3
	s_add_u32 s48, s34, s0
	s_addc_u32 s49, s35, s1
	s_and_b32 s51, s3, 0xffff
	s_ashr_i32 s52, s17, 31
	s_ashr_i32 s54, s18, 31
	v_rcp_iflag_f32_e32 v1, v1
	s_mul_i32 s50, s50, s2
	s_cmp_gt_i32 s16, 0
	s_mul_hi_u32 s2, s10, s6
	s_mul_i32 s3, s10, s37
	s_mul_hi_u32 s4, s8, s28
	s_mul_i32 s5, s8, s5
	s_cselect_b64 s[26:27], -1, 0
	s_add_i32 s2, s2, s3
	s_mul_i32 s3, s11, s6
	s_add_i32 s4, s4, s5
	s_mul_i32 s5, s9, s28
	;; [unrolled: 2-line block ×4, first 2 shown]
	s_lshl_b64 s[2:3], s[2:3], 2
	s_lshl_b64 s[4:5], s[4:5], 2
	v_mul_f32_e32 v1, 0x4f7ffffe, v1
	s_add_u32 s2, s2, s4
	v_cvt_u32_f32_e32 v17, v1
	s_addc_u32 s3, s3, s5
	s_add_u32 s20, s20, s2
	s_mov_b32 s45, s25
	s_mov_b32 s53, s17
	v_cmp_gt_i32_e64 s[0:1], s25, v0
	s_mul_i32 s55, s17, s6
	s_mov_b32 s22, 0
	s_addc_u32 s21, s21, s3
	s_lshl_b64 s[12:13], s[12:13], 2
	s_lshl_b64 s[14:15], s[14:15], 2
	;; [unrolled: 1-line block ×3, first 2 shown]
	s_add_i32 s56, s56, s30
	s_mul_i32 s57, s18, s17
	s_mov_b64 s[28:29], 0
	v_mov_b32_e32 v2, 0
	s_branch .LBB1_12
.LBB1_11:                               ;   in Loop: Header=BB1_12 Depth=1
	s_or_b64 exec, exec, s[30:31]
	v_add_u32_e32 v16, s50, v16
	v_cmp_le_i32_e32 vcc, s24, v16
	s_or_b64 s[28:29], vcc, s[28:29]
	s_andn2_b64 exec, exec, s[28:29]
	s_cbranch_execz .LBB1_51
.LBB1_12:                               ; =>This Loop Header: Depth=1
                                        ;     Child Loop BB1_28 Depth 2
                                        ;       Child Loop BB1_44 Depth 3
                                        ;         Child Loop BB1_47 Depth 4
                                        ;           Child Loop BB1_49 Depth 5
	v_ashrrev_i32_e32 v8, 31, v16
	v_or_b32_e32 v4, s19, v8
	v_mov_b32_e32 v3, v2
	v_cmp_ne_u64_e32 vcc, 0, v[3:4]
                                        ; implicit-def: $vgpr5_vgpr6
	s_and_saveexec_b64 s[2:3], vcc
	s_xor_b64 s[2:3], exec, s[2:3]
	s_cbranch_execz .LBB1_14
; %bb.13:                               ;   in Loop: Header=BB1_12 Depth=1
	s_ashr_i32 s4, s33, 31
	s_add_i32 s5, s33, s4
	s_xor_b32 s5, s5, s4
	v_cvt_f32_u32_e32 v1, s5
	s_sub_i32 s6, 0, s5
	v_ashrrev_i32_e32 v4, 31, v16
	v_add_u32_e32 v5, v16, v4
	v_rcp_iflag_f32_e32 v1, v1
	v_xor_b32_e32 v5, v5, v4
	v_mul_f32_e32 v1, 0x4f7ffffe, v1
	v_cvt_u32_f32_e32 v1, v1
	v_mul_lo_u32 v3, s6, v1
	v_mul_hi_u32 v3, v1, v3
	v_add_u32_e32 v1, v1, v3
	v_mul_hi_u32 v1, v5, v1
	v_mul_lo_u32 v3, v1, s5
	v_add_u32_e32 v6, 1, v1
	v_sub_u32_e32 v3, v5, v3
	v_subrev_u32_e32 v5, s5, v3
	v_cmp_le_u32_e32 vcc, s5, v3
	v_cndmask_b32_e32 v3, v3, v5, vcc
	v_cndmask_b32_e32 v1, v1, v6, vcc
	v_add_u32_e32 v5, 1, v1
	v_cmp_le_u32_e32 vcc, s5, v3
	v_cndmask_b32_e32 v1, v1, v5, vcc
	v_xor_b32_e32 v3, s4, v4
	v_xor_b32_e32 v1, v1, v3
	v_sub_u32_e32 v5, v1, v3
	v_ashrrev_i32_e32 v6, 31, v5
.LBB1_14:                               ;   in Loop: Header=BB1_12 Depth=1
	s_andn2_saveexec_b64 s[2:3], s[2:3]
	s_cbranch_execz .LBB1_16
; %bb.15:                               ;   in Loop: Header=BB1_12 Depth=1
	s_sub_i32 s4, 0, s33
	v_mul_lo_u32 v1, s4, v17
	v_mul_hi_u32 v1, v17, v1
	v_add_u32_e32 v1, v17, v1
	v_mul_hi_u32 v1, v16, v1
	v_mul_lo_u32 v3, v1, s33
	v_add_u32_e32 v4, 1, v1
	v_sub_u32_e32 v3, v16, v3
	v_subrev_u32_e32 v5, s33, v3
	v_cmp_le_u32_e32 vcc, s33, v3
	v_cndmask_b32_e32 v3, v3, v5, vcc
	v_cndmask_b32_e32 v1, v1, v4, vcc
	v_add_u32_e32 v4, 1, v1
	v_cmp_le_u32_e32 vcc, s33, v3
	v_cndmask_b32_e32 v1, v1, v4, vcc
	v_mov_b32_e32 v6, v2
	v_mov_b32_e32 v5, v1
.LBB1_16:                               ;   in Loop: Header=BB1_12 Depth=1
	s_or_b64 exec, exec, s[2:3]
	v_mul_lo_u32 v1, v6, s33
	v_mul_lo_u32 v6, v5, s19
	v_mad_u64_u32 v[3:4], s[2:3], v5, s33, 0
	v_add3_u32 v1, v4, v6, v1
	v_sub_co_u32_e32 v3, vcc, v16, v3
	v_subb_co_u32_e32 v1, vcc, v8, v1, vcc
	v_mul_lo_u32 v1, v1, s53
	v_mul_lo_u32 v6, v3, s52
	v_mad_u64_u32 v[3:4], s[2:3], v3, s53, 0
	v_add3_u32 v4, v4, v6, v1
	v_or_b32_e32 v7, s19, v4
	v_mov_b32_e32 v6, v2
	v_cmp_ne_u64_e32 vcc, 0, v[6:7]
                                        ; implicit-def: $vgpr6_vgpr7
	s_and_saveexec_b64 s[2:3], vcc
	s_xor_b64 s[4:5], exec, s[2:3]
	s_cbranch_execz .LBB1_18
; %bb.17:                               ;   in Loop: Header=BB1_12 Depth=1
	s_ashr_i32 s6, s19, 31
	s_add_u32 s2, s33, s6
	s_mov_b32 s7, s6
	s_addc_u32 s3, s19, s6
	s_xor_b64 s[8:9], s[2:3], s[6:7]
	v_cvt_f32_u32_e32 v1, s8
	v_cvt_f32_u32_e32 v6, s9
	s_sub_u32 s7, 0, s8
	s_subb_u32 s23, 0, s9
	v_mac_f32_e32 v1, 0x4f800000, v6
	v_rcp_f32_e32 v1, v1
	v_mul_f32_e32 v1, 0x5f7ffffc, v1
	v_mul_f32_e32 v6, 0x2f800000, v1
	v_trunc_f32_e32 v6, v6
	v_mac_f32_e32 v1, 0xcf800000, v6
	v_cvt_u32_f32_e32 v6, v6
	v_cvt_u32_f32_e32 v1, v1
	v_readfirstlane_b32 s30, v6
	v_readfirstlane_b32 s2, v1
	s_mul_i32 s3, s7, s30
	s_mul_hi_u32 s34, s7, s2
	s_mul_i32 s31, s23, s2
	s_add_i32 s3, s34, s3
	s_add_i32 s3, s3, s31
	s_mul_i32 s35, s7, s2
	s_mul_i32 s34, s2, s3
	s_mul_hi_u32 s36, s2, s35
	s_mul_hi_u32 s31, s2, s3
	s_add_u32 s34, s36, s34
	s_addc_u32 s31, 0, s31
	s_mul_hi_u32 s37, s30, s35
	s_mul_i32 s35, s30, s35
	s_add_u32 s34, s34, s35
	s_mul_hi_u32 s36, s30, s3
	s_addc_u32 s31, s31, s37
	s_addc_u32 s34, s36, 0
	s_mul_i32 s3, s30, s3
	s_add_u32 s3, s31, s3
	s_addc_u32 s31, 0, s34
	s_add_u32 s34, s2, s3
	s_cselect_b64 s[2:3], -1, 0
	s_cmp_lg_u64 s[2:3], 0
	s_addc_u32 s30, s30, s31
	s_mul_i32 s2, s7, s30
	s_mul_hi_u32 s3, s7, s34
	s_add_i32 s2, s3, s2
	s_mul_i32 s23, s23, s34
	s_add_i32 s2, s2, s23
	s_mul_i32 s7, s7, s34
	s_mul_hi_u32 s23, s30, s7
	s_mul_i32 s31, s30, s7
	s_mul_i32 s36, s34, s2
	s_mul_hi_u32 s7, s34, s7
	s_mul_hi_u32 s35, s34, s2
	s_add_u32 s7, s7, s36
	s_addc_u32 s35, 0, s35
	s_add_u32 s7, s7, s31
	s_mul_hi_u32 s3, s30, s2
	s_addc_u32 s7, s35, s23
	s_addc_u32 s3, s3, 0
	s_mul_i32 s2, s30, s2
	s_add_u32 s2, s7, s2
	s_addc_u32 s7, 0, s3
	s_add_u32 s23, s34, s2
	s_cselect_b64 s[2:3], -1, 0
	v_ashrrev_i32_e32 v1, 31, v4
	s_cmp_lg_u64 s[2:3], 0
	v_add_co_u32_e32 v3, vcc, v3, v1
	s_addc_u32 s7, s30, s7
	v_xor_b32_e32 v9, v3, v1
	v_addc_co_u32_e32 v6, vcc, v4, v1, vcc
	v_mad_u64_u32 v[3:4], s[2:3], v9, s7, 0
	v_mul_hi_u32 v7, v9, s23
	v_xor_b32_e32 v10, v6, v1
	v_xor_b32_e32 v1, s6, v1
	v_add_co_u32_e32 v11, vcc, v7, v3
	v_addc_co_u32_e32 v12, vcc, 0, v4, vcc
	v_mad_u64_u32 v[3:4], s[2:3], v10, s23, 0
	v_mad_u64_u32 v[6:7], s[2:3], v10, s7, 0
	v_add_co_u32_e32 v3, vcc, v11, v3
	v_addc_co_u32_e32 v3, vcc, v12, v4, vcc
	v_addc_co_u32_e32 v4, vcc, 0, v7, vcc
	v_add_co_u32_e32 v6, vcc, v3, v6
	v_addc_co_u32_e32 v7, vcc, 0, v4, vcc
	v_mul_lo_u32 v11, s9, v6
	v_mul_lo_u32 v12, s8, v7
	v_mad_u64_u32 v[3:4], s[2:3], s8, v6, 0
	v_add3_u32 v4, v4, v12, v11
	v_sub_u32_e32 v11, v10, v4
	v_mov_b32_e32 v12, s9
	v_sub_co_u32_e32 v3, vcc, v9, v3
	v_subb_co_u32_e64 v9, s[2:3], v11, v12, vcc
	v_subrev_co_u32_e64 v11, s[2:3], s8, v3
	v_subbrev_co_u32_e64 v9, s[2:3], 0, v9, s[2:3]
	v_cmp_le_u32_e64 s[2:3], s9, v9
	v_cndmask_b32_e64 v12, 0, -1, s[2:3]
	v_cmp_le_u32_e64 s[2:3], s8, v11
	v_cndmask_b32_e64 v11, 0, -1, s[2:3]
	v_cmp_eq_u32_e64 s[2:3], s9, v9
	v_cndmask_b32_e64 v9, v12, v11, s[2:3]
	v_add_co_u32_e64 v11, s[2:3], 2, v6
	v_subb_co_u32_e32 v4, vcc, v10, v4, vcc
	v_addc_co_u32_e64 v12, s[2:3], 0, v7, s[2:3]
	v_cmp_le_u32_e32 vcc, s9, v4
	v_add_co_u32_e64 v13, s[2:3], 1, v6
	v_cndmask_b32_e64 v10, 0, -1, vcc
	v_cmp_le_u32_e32 vcc, s8, v3
	v_addc_co_u32_e64 v14, s[2:3], 0, v7, s[2:3]
	v_cndmask_b32_e64 v3, 0, -1, vcc
	v_cmp_eq_u32_e32 vcc, s9, v4
	v_cmp_ne_u32_e64 s[2:3], 0, v9
	v_cndmask_b32_e32 v3, v10, v3, vcc
	v_cmp_ne_u32_e32 vcc, 0, v3
	v_cndmask_b32_e64 v4, v13, v11, s[2:3]
	v_cndmask_b32_e64 v9, v14, v12, s[2:3]
	v_cndmask_b32_e32 v4, v6, v4, vcc
	v_cndmask_b32_e32 v3, v7, v9, vcc
	v_xor_b32_e32 v4, v4, v1
	v_xor_b32_e32 v3, v3, v1
	v_sub_co_u32_e32 v6, vcc, v4, v1
	v_subb_co_u32_e32 v7, vcc, v3, v1, vcc
                                        ; implicit-def: $vgpr3_vgpr4
.LBB1_18:                               ;   in Loop: Header=BB1_12 Depth=1
	s_andn2_saveexec_b64 s[2:3], s[4:5]
	s_cbranch_execz .LBB1_20
; %bb.19:                               ;   in Loop: Header=BB1_12 Depth=1
	s_sub_i32 s4, 0, s33
	v_mul_lo_u32 v1, s4, v17
	v_mul_hi_u32 v1, v17, v1
	v_add_u32_e32 v1, v17, v1
	v_mul_hi_u32 v1, v3, v1
	v_mul_lo_u32 v4, v1, s33
	v_add_u32_e32 v6, 1, v1
	v_sub_u32_e32 v3, v3, v4
	v_subrev_u32_e32 v4, s33, v3
	v_cmp_le_u32_e32 vcc, s33, v3
	v_cndmask_b32_e32 v3, v3, v4, vcc
	v_cndmask_b32_e32 v1, v1, v6, vcc
	v_add_u32_e32 v4, 1, v1
	v_cmp_le_u32_e32 vcc, s33, v3
	v_cndmask_b32_e32 v1, v1, v4, vcc
	v_mov_b32_e32 v7, v2
	v_mov_b32_e32 v6, v1
.LBB1_20:                               ;   in Loop: Header=BB1_12 Depth=1
	s_or_b64 exec, exec, s[2:3]
	v_add_co_u32_e32 v1, vcc, 1, v16
	v_addc_co_u32_e32 v3, vcc, 0, v8, vcc
	v_mul_lo_u32 v8, v1, s52
	v_mul_lo_u32 v9, v3, s53
	v_mad_u64_u32 v[3:4], s[2:3], v1, s53, -1
	v_add3_u32 v4, v9, v4, v8
	v_or_b32_e32 v9, s19, v4
	v_mov_b32_e32 v8, v2
	v_cmp_ne_u64_e32 vcc, 0, v[8:9]
                                        ; implicit-def: $vgpr8_vgpr9
	s_and_saveexec_b64 s[2:3], vcc
	s_xor_b64 s[4:5], exec, s[2:3]
	s_cbranch_execnz .LBB1_23
; %bb.21:                               ;   in Loop: Header=BB1_12 Depth=1
	s_andn2_saveexec_b64 s[2:3], s[4:5]
	s_cbranch_execnz .LBB1_24
.LBB1_22:                               ;   in Loop: Header=BB1_12 Depth=1
	s_or_b64 exec, exec, s[2:3]
	s_and_saveexec_b64 s[30:31], s[0:1]
	s_cbranch_execz .LBB1_11
	s_branch .LBB1_25
.LBB1_23:                               ;   in Loop: Header=BB1_12 Depth=1
	s_ashr_i32 s6, s19, 31
	s_add_u32 s2, s33, s6
	s_mov_b32 s7, s6
	s_addc_u32 s3, s19, s6
	s_xor_b64 s[8:9], s[2:3], s[6:7]
	v_cvt_f32_u32_e32 v1, s8
	v_cvt_f32_u32_e32 v8, s9
	s_sub_u32 s7, 0, s8
	s_subb_u32 s23, 0, s9
	v_mac_f32_e32 v1, 0x4f800000, v8
	v_rcp_f32_e32 v1, v1
	v_mul_f32_e32 v1, 0x5f7ffffc, v1
	v_mul_f32_e32 v8, 0x2f800000, v1
	v_trunc_f32_e32 v8, v8
	v_mac_f32_e32 v1, 0xcf800000, v8
	v_cvt_u32_f32_e32 v8, v8
	v_cvt_u32_f32_e32 v1, v1
	v_readfirstlane_b32 s30, v8
	v_readfirstlane_b32 s2, v1
	s_mul_i32 s3, s7, s30
	s_mul_hi_u32 s34, s7, s2
	s_mul_i32 s31, s23, s2
	s_add_i32 s3, s34, s3
	s_add_i32 s3, s3, s31
	s_mul_i32 s35, s7, s2
	s_mul_i32 s34, s2, s3
	s_mul_hi_u32 s36, s2, s35
	s_mul_hi_u32 s31, s2, s3
	s_add_u32 s34, s36, s34
	s_addc_u32 s31, 0, s31
	s_mul_hi_u32 s37, s30, s35
	s_mul_i32 s35, s30, s35
	s_add_u32 s34, s34, s35
	s_mul_hi_u32 s36, s30, s3
	s_addc_u32 s31, s31, s37
	s_addc_u32 s34, s36, 0
	s_mul_i32 s3, s30, s3
	s_add_u32 s3, s31, s3
	s_addc_u32 s31, 0, s34
	s_add_u32 s34, s2, s3
	s_cselect_b64 s[2:3], -1, 0
	s_cmp_lg_u64 s[2:3], 0
	s_addc_u32 s30, s30, s31
	s_mul_i32 s2, s7, s30
	s_mul_hi_u32 s3, s7, s34
	s_add_i32 s2, s3, s2
	s_mul_i32 s23, s23, s34
	s_add_i32 s2, s2, s23
	s_mul_i32 s7, s7, s34
	s_mul_hi_u32 s23, s30, s7
	s_mul_i32 s31, s30, s7
	s_mul_i32 s36, s34, s2
	s_mul_hi_u32 s7, s34, s7
	s_mul_hi_u32 s35, s34, s2
	s_add_u32 s7, s7, s36
	s_addc_u32 s35, 0, s35
	s_add_u32 s7, s7, s31
	s_mul_hi_u32 s3, s30, s2
	s_addc_u32 s7, s35, s23
	s_addc_u32 s3, s3, 0
	s_mul_i32 s2, s30, s2
	s_add_u32 s2, s7, s2
	s_addc_u32 s7, 0, s3
	s_add_u32 s23, s34, s2
	s_cselect_b64 s[2:3], -1, 0
	v_ashrrev_i32_e32 v1, 31, v4
	s_cmp_lg_u64 s[2:3], 0
	v_add_co_u32_e32 v3, vcc, v3, v1
	s_addc_u32 s7, s30, s7
	v_xor_b32_e32 v10, v3, v1
	v_addc_co_u32_e32 v8, vcc, v4, v1, vcc
	v_mad_u64_u32 v[3:4], s[2:3], v10, s7, 0
	v_mul_hi_u32 v9, v10, s23
	v_xor_b32_e32 v11, v8, v1
	v_xor_b32_e32 v1, s6, v1
	v_add_co_u32_e32 v12, vcc, v9, v3
	v_addc_co_u32_e32 v13, vcc, 0, v4, vcc
	v_mad_u64_u32 v[3:4], s[2:3], v11, s23, 0
	v_mad_u64_u32 v[8:9], s[2:3], v11, s7, 0
	v_add_co_u32_e32 v3, vcc, v12, v3
	v_addc_co_u32_e32 v3, vcc, v13, v4, vcc
	v_addc_co_u32_e32 v4, vcc, 0, v9, vcc
	v_add_co_u32_e32 v8, vcc, v3, v8
	v_addc_co_u32_e32 v3, vcc, 0, v4, vcc
	v_mul_lo_u32 v9, s9, v8
	v_mul_lo_u32 v12, s8, v3
	v_mad_u64_u32 v[3:4], s[2:3], s8, v8, 0
	v_add3_u32 v4, v4, v12, v9
	v_sub_u32_e32 v9, v11, v4
	v_mov_b32_e32 v12, s9
	v_sub_co_u32_e32 v3, vcc, v10, v3
	v_subb_co_u32_e64 v9, s[2:3], v9, v12, vcc
	v_subrev_co_u32_e64 v10, s[2:3], s8, v3
	v_subbrev_co_u32_e64 v9, s[2:3], 0, v9, s[2:3]
	v_cmp_le_u32_e64 s[2:3], s9, v9
	v_subb_co_u32_e32 v4, vcc, v11, v4, vcc
	v_cndmask_b32_e64 v12, 0, -1, s[2:3]
	v_cmp_le_u32_e64 s[2:3], s8, v10
	v_cmp_le_u32_e32 vcc, s9, v4
	v_cndmask_b32_e64 v10, 0, -1, s[2:3]
	v_cmp_eq_u32_e64 s[2:3], s9, v9
	v_cndmask_b32_e64 v11, 0, -1, vcc
	v_cmp_le_u32_e32 vcc, s8, v3
	v_cndmask_b32_e64 v9, v12, v10, s[2:3]
	v_cndmask_b32_e64 v3, 0, -1, vcc
	v_cmp_eq_u32_e32 vcc, s9, v4
	v_add_co_u32_e64 v10, s[2:3], 2, v8
	v_add_co_u32_e64 v12, s[2:3], 1, v8
	v_cndmask_b32_e32 v3, v11, v3, vcc
	v_cmp_ne_u32_e32 vcc, 0, v9
	v_cndmask_b32_e32 v4, v12, v10, vcc
	v_cmp_ne_u32_e32 vcc, 0, v3
	v_cndmask_b32_e32 v3, v8, v4, vcc
	v_xor_b32_e32 v3, v3, v1
	v_sub_co_u32_e32 v8, vcc, v3, v1
                                        ; implicit-def: $vgpr3_vgpr4
	s_andn2_saveexec_b64 s[2:3], s[4:5]
	s_cbranch_execz .LBB1_22
.LBB1_24:                               ;   in Loop: Header=BB1_12 Depth=1
	s_sub_i32 s4, 0, s33
	v_mul_lo_u32 v1, s4, v17
	v_mul_hi_u32 v1, v17, v1
	v_add_u32_e32 v1, v17, v1
	v_mul_hi_u32 v1, v3, v1
	v_mul_lo_u32 v4, v1, s33
	v_add_u32_e32 v8, 1, v1
	v_sub_u32_e32 v3, v3, v4
	v_subrev_u32_e32 v4, s33, v3
	v_cmp_le_u32_e32 vcc, s33, v3
	v_cndmask_b32_e32 v3, v3, v4, vcc
	v_cndmask_b32_e32 v1, v1, v8, vcc
	v_add_u32_e32 v4, 1, v1
	v_cmp_le_u32_e32 vcc, s33, v3
	v_cndmask_b32_e32 v8, v1, v4, vcc
	s_or_b64 exec, exec, s[2:3]
	s_and_saveexec_b64 s[30:31], s[0:1]
	s_cbranch_execz .LBB1_11
.LBB1_25:                               ;   in Loop: Header=BB1_12 Depth=1
	v_mad_u64_u32 v[3:4], s[2:3], v5, s53, v[6:7]
	v_mul_lo_u32 v7, v16, s25
	v_add_u32_e32 v5, s56, v5
	v_sub_u32_e32 v1, v8, v3
	v_add_u32_e32 v18, 1, v1
	v_ashrrev_i32_e32 v8, 31, v7
	v_lshlrev_b64 v[9:10], 2, v[7:8]
	v_mov_b32_e32 v1, s47
	v_add_co_u32_e32 v19, vcc, s46, v9
	v_lshlrev_b64 v[7:8], 3, v[7:8]
	v_addc_co_u32_e32 v20, vcc, v1, v10, vcc
	v_mov_b32_e32 v1, s49
	v_add_co_u32_e32 v21, vcc, s48, v7
	v_addc_co_u32_e32 v22, vcc, v1, v8, vcc
	v_mov_b32_e32 v7, s20
	v_ashrrev_i32_e32 v4, 31, v3
	v_add_u32_e32 v1, s55, v3
	v_mov_b32_e32 v8, s21
	v_mul_lo_u32 v23, v1, s18
	v_mul_lo_u32 v1, s12, v4
	;; [unrolled: 1-line block ×3, first 2 shown]
	v_mad_u64_u32 v[3:4], s[4:5], s12, v3, v[7:8]
	v_mad_u64_u32 v[5:6], s[4:5], s17, v5, v[6:7]
	v_cmp_lt_i32_e64 s[2:3], 0, v18
	v_add3_u32 v4, v9, v4, v1
	s_mov_b64 s[34:35], 0
	v_mov_b32_e32 v1, v0
	s_branch .LBB1_28
.LBB1_26:                               ;   in Loop: Header=BB1_28 Depth=2
	v_mov_b32_e32 v7, 0xff800000
.LBB1_27:                               ;   in Loop: Header=BB1_28 Depth=2
	v_lshlrev_b64 v[10:11], 2, v[1:2]
	v_lshlrev_b64 v[12:13], 3, v[1:2]
	v_add_co_u32_e32 v10, vcc, v19, v10
	v_addc_co_u32_e32 v11, vcc, v20, v11, vcc
	v_add_co_u32_e32 v12, vcc, v21, v12
	v_addc_co_u32_e32 v13, vcc, v22, v13, vcc
	v_add_u32_e32 v1, s51, v1
	v_cmp_le_i32_e32 vcc, s25, v1
	s_or_b64 s[34:35], vcc, s[34:35]
	global_store_dword v[10:11], v7, off
	global_store_dwordx2 v[12:13], v[8:9], off
	s_andn2_b64 exec, exec, s[34:35]
	s_cbranch_execz .LBB1_11
.LBB1_28:                               ;   Parent Loop BB1_12 Depth=1
                                        ; =>  This Loop Header: Depth=2
                                        ;       Child Loop BB1_44 Depth 3
                                        ;         Child Loop BB1_47 Depth 4
                                        ;           Child Loop BB1_49 Depth 5
	s_mov_b32 s23, s44
	s_cmp_lg_u64 s[22:23], 0
	s_cselect_b64 s[4:5], -1, 0
                                        ; implicit-def: $vgpr6_vgpr7
	s_and_saveexec_b64 s[6:7], s[4:5]
	s_xor_b64 s[6:7], exec, s[6:7]
	s_cbranch_execz .LBB1_30
; %bb.29:                               ;   in Loop: Header=BB1_28 Depth=2
	s_ashr_i32 s8, s44, 31
	s_add_u32 s4, s45, s8
	s_mov_b32 s9, s8
	s_addc_u32 s5, s44, s8
	s_xor_b64 s[36:37], s[4:5], s[8:9]
	v_cvt_f32_u32_e32 v6, s36
	v_cvt_f32_u32_e32 v7, s37
	s_sub_u32 s9, 0, s36
	s_subb_u32 s23, 0, s37
	v_add_co_u32_e32 v10, vcc, 0, v1
	v_mac_f32_e32 v6, 0x4f800000, v7
	v_rcp_f32_e32 v6, v6
	v_mul_f32_e32 v6, 0x5f7ffffc, v6
	v_mul_f32_e32 v7, 0x2f800000, v6
	v_trunc_f32_e32 v7, v7
	v_mac_f32_e32 v6, 0xcf800000, v7
	v_cvt_u32_f32_e32 v7, v7
	v_cvt_u32_f32_e32 v6, v6
	v_readfirstlane_b32 s38, v7
	v_readfirstlane_b32 s4, v6
	s_mul_i32 s5, s9, s38
	s_mul_hi_u32 s40, s9, s4
	s_mul_i32 s39, s23, s4
	s_add_i32 s5, s40, s5
	s_add_i32 s5, s5, s39
	s_mul_i32 s41, s9, s4
	s_mul_i32 s40, s4, s5
	s_mul_hi_u32 s42, s4, s41
	s_mul_hi_u32 s39, s4, s5
	s_add_u32 s40, s42, s40
	s_addc_u32 s39, 0, s39
	s_mul_hi_u32 s43, s38, s41
	s_mul_i32 s41, s38, s41
	s_add_u32 s40, s40, s41
	s_mul_hi_u32 s42, s38, s5
	s_addc_u32 s39, s39, s43
	s_addc_u32 s40, s42, 0
	s_mul_i32 s5, s38, s5
	s_add_u32 s5, s39, s5
	s_addc_u32 s39, 0, s40
	s_add_u32 s40, s4, s5
	s_cselect_b64 s[4:5], -1, 0
	s_cmp_lg_u64 s[4:5], 0
	s_addc_u32 s38, s38, s39
	s_mul_i32 s4, s9, s38
	s_mul_hi_u32 s5, s9, s40
	s_add_i32 s4, s5, s4
	s_mul_i32 s23, s23, s40
	s_add_i32 s4, s4, s23
	s_mul_i32 s9, s9, s40
	s_mul_hi_u32 s23, s38, s9
	s_mul_i32 s39, s38, s9
	s_mul_i32 s42, s40, s4
	s_mul_hi_u32 s9, s40, s9
	s_mul_hi_u32 s41, s40, s4
	s_add_u32 s9, s9, s42
	s_addc_u32 s41, 0, s41
	s_add_u32 s9, s9, s39
	s_mul_hi_u32 s5, s38, s4
	s_addc_u32 s9, s41, s23
	s_addc_u32 s5, s5, 0
	s_mul_i32 s4, s38, s4
	s_add_u32 s4, s9, s4
	s_addc_u32 s9, 0, s5
	s_add_u32 s23, s40, s4
	s_cselect_b64 s[4:5], -1, 0
	s_cmp_lg_u64 s[4:5], 0
	s_addc_u32 s9, s38, s9
	v_mad_u64_u32 v[6:7], s[4:5], v10, s9, 0
	v_mul_hi_u32 v8, v10, s23
	v_addc_co_u32_e64 v11, s[4:5], 0, 0, vcc
	v_add_co_u32_e32 v12, vcc, v8, v6
	v_addc_co_u32_e32 v13, vcc, 0, v7, vcc
	v_mad_u64_u32 v[6:7], s[4:5], v11, s23, 0
	v_mad_u64_u32 v[8:9], s[4:5], v11, s9, 0
	v_add_co_u32_e32 v6, vcc, v12, v6
	v_addc_co_u32_e32 v6, vcc, v13, v7, vcc
	v_addc_co_u32_e32 v7, vcc, 0, v9, vcc
	v_add_co_u32_e32 v8, vcc, v6, v8
	v_addc_co_u32_e32 v9, vcc, 0, v7, vcc
	v_mul_lo_u32 v12, s37, v8
	v_mul_lo_u32 v13, s36, v9
	v_mad_u64_u32 v[6:7], s[4:5], s36, v8, 0
	v_add3_u32 v7, v7, v13, v12
	v_sub_u32_e32 v12, v11, v7
	v_mov_b32_e32 v13, s37
	v_sub_co_u32_e32 v6, vcc, v10, v6
	v_subb_co_u32_e64 v10, s[4:5], v12, v13, vcc
	v_subrev_co_u32_e64 v12, s[4:5], s36, v6
	v_subbrev_co_u32_e64 v10, s[4:5], 0, v10, s[4:5]
	v_cmp_le_u32_e64 s[4:5], s37, v10
	v_cndmask_b32_e64 v13, 0, -1, s[4:5]
	v_cmp_le_u32_e64 s[4:5], s36, v12
	v_cndmask_b32_e64 v12, 0, -1, s[4:5]
	v_cmp_eq_u32_e64 s[4:5], s37, v10
	v_cndmask_b32_e64 v10, v13, v12, s[4:5]
	v_add_co_u32_e64 v12, s[4:5], 2, v8
	v_subb_co_u32_e32 v7, vcc, v11, v7, vcc
	v_addc_co_u32_e64 v13, s[4:5], 0, v9, s[4:5]
	v_cmp_le_u32_e32 vcc, s37, v7
	v_add_co_u32_e64 v14, s[4:5], 1, v8
	v_cndmask_b32_e64 v11, 0, -1, vcc
	v_cmp_le_u32_e32 vcc, s36, v6
	v_addc_co_u32_e64 v15, s[4:5], 0, v9, s[4:5]
	v_cndmask_b32_e64 v6, 0, -1, vcc
	v_cmp_eq_u32_e32 vcc, s37, v7
	v_cmp_ne_u32_e64 s[4:5], 0, v10
	v_cndmask_b32_e32 v6, v11, v6, vcc
	v_cndmask_b32_e64 v10, v15, v13, s[4:5]
	v_cmp_ne_u32_e32 vcc, 0, v6
	v_cndmask_b32_e64 v7, v14, v12, s[4:5]
	v_cndmask_b32_e32 v6, v9, v10, vcc
	v_cndmask_b32_e32 v7, v8, v7, vcc
	v_xor_b32_e32 v8, s8, v6
	v_xor_b32_e32 v6, s8, v7
	v_mov_b32_e32 v7, s8
	v_subrev_co_u32_e32 v6, vcc, s8, v6
	v_subb_co_u32_e32 v7, vcc, v8, v7, vcc
.LBB1_30:                               ;   in Loop: Header=BB1_28 Depth=2
	s_andn2_saveexec_b64 s[4:5], s[6:7]
	s_cbranch_execz .LBB1_32
; %bb.31:                               ;   in Loop: Header=BB1_28 Depth=2
	v_cvt_f32_u32_e32 v6, s45
	s_sub_i32 s6, 0, s45
	v_rcp_iflag_f32_e32 v6, v6
	v_mul_f32_e32 v6, 0x4f7ffffe, v6
	v_cvt_u32_f32_e32 v6, v6
	v_mul_lo_u32 v7, s6, v6
	v_mul_hi_u32 v7, v6, v7
	v_add_u32_e32 v6, v6, v7
	v_mul_hi_u32 v6, v1, v6
	v_mul_lo_u32 v7, v6, s45
	v_add_u32_e32 v8, 1, v6
	v_sub_u32_e32 v7, v1, v7
	v_subrev_u32_e32 v9, s45, v7
	v_cmp_le_u32_e32 vcc, s45, v7
	v_cndmask_b32_e32 v7, v7, v9, vcc
	v_cndmask_b32_e32 v6, v6, v8, vcc
	v_add_u32_e32 v8, 1, v6
	v_cmp_le_u32_e32 vcc, s45, v7
	v_cndmask_b32_e32 v6, v6, v8, vcc
	v_mov_b32_e32 v7, v2
.LBB1_32:                               ;   in Loop: Header=BB1_28 Depth=2
	s_or_b64 exec, exec, s[4:5]
	v_mul_lo_u32 v9, v7, s45
	v_mul_lo_u32 v10, v6, s44
	v_mad_u64_u32 v[7:8], s[4:5], v6, s45, 0
	v_add3_u32 v8, v8, v10, v9
	v_sub_co_u32_e32 v7, vcc, v1, v7
	v_subb_co_u32_e32 v8, vcc, 0, v8, vcc
	v_mul_lo_u32 v8, v8, s18
	v_mul_lo_u32 v11, v7, s54
	v_mad_u64_u32 v[9:10], s[4:5], v7, s18, 0
	v_mov_b32_e32 v7, v2
	v_add3_u32 v10, v10, v11, v8
	v_or_b32_e32 v8, s44, v10
	v_cmp_ne_u64_e32 vcc, 0, v[7:8]
                                        ; implicit-def: $vgpr7_vgpr8
	s_and_saveexec_b64 s[4:5], vcc
	s_xor_b64 s[6:7], exec, s[4:5]
	s_cbranch_execz .LBB1_34
; %bb.33:                               ;   in Loop: Header=BB1_28 Depth=2
	s_ashr_i32 s8, s44, 31
	s_add_u32 s4, s45, s8
	s_mov_b32 s9, s8
	s_addc_u32 s5, s44, s8
	s_xor_b64 s[36:37], s[4:5], s[8:9]
	v_cvt_f32_u32_e32 v7, s36
	v_cvt_f32_u32_e32 v8, s37
	s_sub_u32 s9, 0, s36
	s_subb_u32 s23, 0, s37
	v_ashrrev_i32_e32 v11, 31, v10
	v_mac_f32_e32 v7, 0x4f800000, v8
	v_rcp_f32_e32 v7, v7
	v_mul_f32_e32 v7, 0x5f7ffffc, v7
	v_mul_f32_e32 v8, 0x2f800000, v7
	v_trunc_f32_e32 v8, v8
	v_mac_f32_e32 v7, 0xcf800000, v8
	v_cvt_u32_f32_e32 v8, v8
	v_cvt_u32_f32_e32 v7, v7
	v_readfirstlane_b32 s38, v8
	v_readfirstlane_b32 s4, v7
	s_mul_i32 s5, s9, s38
	s_mul_hi_u32 s40, s9, s4
	s_mul_i32 s39, s23, s4
	s_add_i32 s5, s40, s5
	s_add_i32 s5, s5, s39
	s_mul_i32 s41, s9, s4
	s_mul_i32 s40, s4, s5
	s_mul_hi_u32 s42, s4, s41
	s_mul_hi_u32 s39, s4, s5
	s_add_u32 s40, s42, s40
	s_addc_u32 s39, 0, s39
	s_mul_hi_u32 s43, s38, s41
	s_mul_i32 s41, s38, s41
	s_add_u32 s40, s40, s41
	s_mul_hi_u32 s42, s38, s5
	s_addc_u32 s39, s39, s43
	s_addc_u32 s40, s42, 0
	s_mul_i32 s5, s38, s5
	s_add_u32 s5, s39, s5
	s_addc_u32 s39, 0, s40
	s_add_u32 s40, s4, s5
	s_cselect_b64 s[4:5], -1, 0
	s_cmp_lg_u64 s[4:5], 0
	s_addc_u32 s38, s38, s39
	s_mul_i32 s4, s9, s38
	s_mul_hi_u32 s5, s9, s40
	s_add_i32 s4, s5, s4
	s_mul_i32 s23, s23, s40
	s_add_i32 s4, s4, s23
	s_mul_i32 s9, s9, s40
	s_mul_hi_u32 s23, s38, s9
	s_mul_i32 s39, s38, s9
	s_mul_i32 s42, s40, s4
	s_mul_hi_u32 s9, s40, s9
	s_mul_hi_u32 s41, s40, s4
	s_add_u32 s9, s9, s42
	s_addc_u32 s41, 0, s41
	s_add_u32 s9, s9, s39
	s_mul_hi_u32 s5, s38, s4
	s_addc_u32 s9, s41, s23
	s_addc_u32 s5, s5, 0
	s_mul_i32 s4, s38, s4
	s_add_u32 s4, s9, s4
	s_addc_u32 s9, 0, s5
	s_add_u32 s23, s40, s4
	s_cselect_b64 s[4:5], -1, 0
	s_cmp_lg_u64 s[4:5], 0
	v_add_co_u32_e32 v7, vcc, v9, v11
	s_addc_u32 s9, s38, s9
	v_xor_b32_e32 v12, v7, v11
	v_addc_co_u32_e32 v9, vcc, v10, v11, vcc
	v_mad_u64_u32 v[7:8], s[4:5], v12, s9, 0
	v_mul_hi_u32 v10, v12, s23
	v_xor_b32_e32 v13, v9, v11
	v_add_co_u32_e32 v14, vcc, v10, v7
	v_addc_co_u32_e32 v15, vcc, 0, v8, vcc
	v_mad_u64_u32 v[7:8], s[4:5], v13, s23, 0
	v_mad_u64_u32 v[9:10], s[4:5], v13, s9, 0
	v_add_co_u32_e32 v7, vcc, v14, v7
	v_addc_co_u32_e32 v7, vcc, v15, v8, vcc
	v_addc_co_u32_e32 v8, vcc, 0, v10, vcc
	v_add_co_u32_e32 v9, vcc, v7, v9
	v_addc_co_u32_e32 v10, vcc, 0, v8, vcc
	v_mul_lo_u32 v14, s37, v9
	v_mul_lo_u32 v15, s36, v10
	v_mad_u64_u32 v[7:8], s[4:5], s36, v9, 0
	v_add3_u32 v8, v8, v15, v14
	v_sub_u32_e32 v14, v13, v8
	v_mov_b32_e32 v15, s37
	v_sub_co_u32_e32 v7, vcc, v12, v7
	v_subb_co_u32_e64 v12, s[4:5], v14, v15, vcc
	v_subrev_co_u32_e64 v14, s[4:5], s36, v7
	v_subbrev_co_u32_e64 v12, s[4:5], 0, v12, s[4:5]
	v_cmp_le_u32_e64 s[4:5], s37, v12
	v_cndmask_b32_e64 v15, 0, -1, s[4:5]
	v_cmp_le_u32_e64 s[4:5], s36, v14
	v_cndmask_b32_e64 v14, 0, -1, s[4:5]
	v_cmp_eq_u32_e64 s[4:5], s37, v12
	v_cndmask_b32_e64 v12, v15, v14, s[4:5]
	v_add_co_u32_e64 v14, s[4:5], 2, v9
	v_subb_co_u32_e32 v8, vcc, v13, v8, vcc
	v_addc_co_u32_e64 v15, s[4:5], 0, v10, s[4:5]
	v_cmp_le_u32_e32 vcc, s37, v8
	v_add_co_u32_e64 v24, s[4:5], 1, v9
	v_cndmask_b32_e64 v13, 0, -1, vcc
	v_cmp_le_u32_e32 vcc, s36, v7
	v_addc_co_u32_e64 v25, s[4:5], 0, v10, s[4:5]
	v_cndmask_b32_e64 v7, 0, -1, vcc
	v_cmp_eq_u32_e32 vcc, s37, v8
	v_cmp_ne_u32_e64 s[4:5], 0, v12
	v_cndmask_b32_e32 v7, v13, v7, vcc
	v_cndmask_b32_e64 v12, v25, v15, s[4:5]
	v_cmp_ne_u32_e32 vcc, 0, v7
	v_cndmask_b32_e64 v8, v24, v14, s[4:5]
	v_cndmask_b32_e32 v7, v10, v12, vcc
	v_cndmask_b32_e32 v8, v9, v8, vcc
	v_xor_b32_e32 v9, s8, v11
	v_xor_b32_e32 v10, v7, v9
	;; [unrolled: 1-line block ×3, first 2 shown]
	v_sub_co_u32_e32 v7, vcc, v7, v9
	v_subb_co_u32_e32 v8, vcc, v10, v9, vcc
                                        ; implicit-def: $vgpr9_vgpr10
.LBB1_34:                               ;   in Loop: Header=BB1_28 Depth=2
	s_andn2_saveexec_b64 s[4:5], s[6:7]
	s_cbranch_execz .LBB1_36
; %bb.35:                               ;   in Loop: Header=BB1_28 Depth=2
	v_cvt_f32_u32_e32 v7, s45
	s_sub_i32 s6, 0, s45
	v_rcp_iflag_f32_e32 v7, v7
	v_mul_f32_e32 v7, 0x4f7ffffe, v7
	v_cvt_u32_f32_e32 v7, v7
	v_mul_lo_u32 v8, s6, v7
	v_mul_hi_u32 v8, v7, v8
	v_add_u32_e32 v7, v7, v8
	v_mul_hi_u32 v7, v9, v7
	v_mul_lo_u32 v8, v7, s45
	v_add_u32_e32 v10, 1, v7
	v_sub_u32_e32 v8, v9, v8
	v_subrev_u32_e32 v9, s45, v8
	v_cmp_le_u32_e32 vcc, s45, v8
	v_cndmask_b32_e32 v8, v8, v9, vcc
	v_cndmask_b32_e32 v7, v7, v10, vcc
	v_add_u32_e32 v9, 1, v7
	v_cmp_le_u32_e32 vcc, s45, v8
	v_cndmask_b32_e32 v7, v7, v9, vcc
	v_mov_b32_e32 v8, v2
.LBB1_36:                               ;   in Loop: Header=BB1_28 Depth=2
	s_or_b64 exec, exec, s[4:5]
	v_add_u32_e32 v11, 1, v1
	v_mad_u64_u32 v[9:10], s[4:5], v11, s18, -1
	v_mad_u64_u32 v[10:11], s[4:5], v11, s54, v[10:11]
	v_mov_b32_e32 v11, v2
	v_or_b32_e32 v12, s44, v10
	v_cmp_ne_u64_e32 vcc, 0, v[11:12]
                                        ; implicit-def: $vgpr11_vgpr12
	s_and_saveexec_b64 s[4:5], vcc
	s_xor_b64 s[6:7], exec, s[4:5]
	s_cbranch_execz .LBB1_38
; %bb.37:                               ;   in Loop: Header=BB1_28 Depth=2
	s_ashr_i32 s8, s44, 31
	s_add_u32 s4, s45, s8
	s_mov_b32 s9, s8
	s_addc_u32 s5, s44, s8
	s_xor_b64 s[36:37], s[4:5], s[8:9]
	v_cvt_f32_u32_e32 v11, s36
	v_cvt_f32_u32_e32 v12, s37
	s_sub_u32 s9, 0, s36
	s_subb_u32 s23, 0, s37
	v_ashrrev_i32_e32 v13, 31, v10
	v_mac_f32_e32 v11, 0x4f800000, v12
	v_rcp_f32_e32 v11, v11
	v_add_co_u32_e32 v9, vcc, v9, v13
	v_xor_b32_e32 v14, v9, v13
	v_mul_f32_e32 v11, 0x5f7ffffc, v11
	v_mul_f32_e32 v12, 0x2f800000, v11
	v_trunc_f32_e32 v12, v12
	v_mac_f32_e32 v11, 0xcf800000, v12
	v_cvt_u32_f32_e32 v12, v12
	v_cvt_u32_f32_e32 v11, v11
	v_readfirstlane_b32 s38, v12
	v_readfirstlane_b32 s4, v11
	s_mul_i32 s5, s9, s38
	s_mul_hi_u32 s40, s9, s4
	s_mul_i32 s39, s23, s4
	s_add_i32 s5, s40, s5
	s_add_i32 s5, s5, s39
	s_mul_i32 s41, s9, s4
	s_mul_i32 s40, s4, s5
	s_mul_hi_u32 s42, s4, s41
	s_mul_hi_u32 s39, s4, s5
	s_add_u32 s40, s42, s40
	s_addc_u32 s39, 0, s39
	s_mul_hi_u32 s43, s38, s41
	s_mul_i32 s41, s38, s41
	s_add_u32 s40, s40, s41
	s_mul_hi_u32 s42, s38, s5
	s_addc_u32 s39, s39, s43
	s_addc_u32 s40, s42, 0
	s_mul_i32 s5, s38, s5
	s_add_u32 s5, s39, s5
	s_addc_u32 s39, 0, s40
	s_add_u32 s40, s4, s5
	s_cselect_b64 s[4:5], -1, 0
	s_cmp_lg_u64 s[4:5], 0
	s_addc_u32 s38, s38, s39
	s_mul_i32 s4, s9, s38
	s_mul_hi_u32 s5, s9, s40
	s_add_i32 s4, s5, s4
	s_mul_i32 s23, s23, s40
	s_add_i32 s4, s4, s23
	s_mul_i32 s9, s9, s40
	s_mul_hi_u32 s23, s38, s9
	s_mul_i32 s39, s38, s9
	s_mul_i32 s42, s40, s4
	s_mul_hi_u32 s9, s40, s9
	s_mul_hi_u32 s41, s40, s4
	s_add_u32 s9, s9, s42
	s_addc_u32 s41, 0, s41
	s_add_u32 s9, s9, s39
	s_mul_hi_u32 s5, s38, s4
	s_addc_u32 s9, s41, s23
	s_addc_u32 s5, s5, 0
	s_mul_i32 s4, s38, s4
	s_add_u32 s4, s9, s4
	s_addc_u32 s9, 0, s5
	s_add_u32 s23, s40, s4
	s_cselect_b64 s[4:5], -1, 0
	s_cmp_lg_u64 s[4:5], 0
	s_addc_u32 s9, s38, s9
	v_addc_co_u32_e32 v11, vcc, v10, v13, vcc
	v_mad_u64_u32 v[9:10], s[4:5], v14, s9, 0
	v_mul_hi_u32 v12, v14, s23
	v_xor_b32_e32 v15, v11, v13
	v_add_co_u32_e32 v24, vcc, v12, v9
	v_addc_co_u32_e32 v25, vcc, 0, v10, vcc
	v_mad_u64_u32 v[9:10], s[4:5], v15, s23, 0
	v_mad_u64_u32 v[11:12], s[4:5], v15, s9, 0
	v_add_co_u32_e32 v9, vcc, v24, v9
	v_addc_co_u32_e32 v9, vcc, v25, v10, vcc
	v_addc_co_u32_e32 v10, vcc, 0, v12, vcc
	v_add_co_u32_e32 v11, vcc, v9, v11
	v_addc_co_u32_e32 v9, vcc, 0, v10, vcc
	v_mul_lo_u32 v12, s37, v11
	v_mul_lo_u32 v24, s36, v9
	v_mad_u64_u32 v[9:10], s[4:5], s36, v11, 0
	v_add3_u32 v10, v10, v24, v12
	v_sub_u32_e32 v12, v15, v10
	v_mov_b32_e32 v24, s37
	v_sub_co_u32_e32 v9, vcc, v14, v9
	v_subb_co_u32_e64 v12, s[4:5], v12, v24, vcc
	v_subrev_co_u32_e64 v14, s[4:5], s36, v9
	v_subbrev_co_u32_e64 v12, s[4:5], 0, v12, s[4:5]
	v_cmp_le_u32_e64 s[4:5], s37, v12
	v_subb_co_u32_e32 v10, vcc, v15, v10, vcc
	v_cndmask_b32_e64 v24, 0, -1, s[4:5]
	v_cmp_le_u32_e64 s[4:5], s36, v14
	v_cmp_le_u32_e32 vcc, s37, v10
	v_cndmask_b32_e64 v14, 0, -1, s[4:5]
	v_cmp_eq_u32_e64 s[4:5], s37, v12
	v_cndmask_b32_e64 v15, 0, -1, vcc
	v_cmp_le_u32_e32 vcc, s36, v9
	v_cndmask_b32_e64 v12, v24, v14, s[4:5]
	v_cndmask_b32_e64 v9, 0, -1, vcc
	v_cmp_eq_u32_e32 vcc, s37, v10
	v_add_co_u32_e64 v14, s[4:5], 2, v11
	v_add_co_u32_e64 v24, s[4:5], 1, v11
	v_cndmask_b32_e32 v9, v15, v9, vcc
	v_cmp_ne_u32_e32 vcc, 0, v12
	v_cndmask_b32_e32 v10, v24, v14, vcc
	v_cmp_ne_u32_e32 vcc, 0, v9
	v_cndmask_b32_e32 v9, v11, v10, vcc
	v_xor_b32_e32 v10, s8, v13
	v_xor_b32_e32 v9, v9, v10
	v_sub_co_u32_e32 v11, vcc, v9, v10
                                        ; implicit-def: $vgpr9_vgpr10
.LBB1_38:                               ;   in Loop: Header=BB1_28 Depth=2
	s_andn2_saveexec_b64 s[4:5], s[6:7]
	s_cbranch_execz .LBB1_40
; %bb.39:                               ;   in Loop: Header=BB1_28 Depth=2
	v_cvt_f32_u32_e32 v10, s45
	s_sub_i32 s6, 0, s45
	v_rcp_iflag_f32_e32 v10, v10
	v_mul_f32_e32 v10, 0x4f7ffffe, v10
	v_cvt_u32_f32_e32 v10, v10
	v_mul_lo_u32 v11, s6, v10
	v_mul_hi_u32 v11, v10, v11
	v_add_u32_e32 v10, v10, v11
	v_mul_hi_u32 v10, v9, v10
	v_mul_lo_u32 v11, v10, s45
	v_add_u32_e32 v12, 1, v10
	v_sub_u32_e32 v9, v9, v11
	v_subrev_u32_e32 v11, s45, v9
	v_cmp_le_u32_e32 vcc, s45, v9
	v_cndmask_b32_e32 v9, v9, v11, vcc
	v_cndmask_b32_e32 v10, v10, v12, vcc
	v_add_u32_e32 v11, 1, v10
	v_cmp_le_u32_e32 vcc, s45, v9
	v_cndmask_b32_e32 v11, v10, v11, vcc
.LBB1_40:                               ;   in Loop: Header=BB1_28 Depth=2
	s_or_b64 exec, exec, s[4:5]
	v_mad_u64_u32 v[12:13], s[4:5], v6, s18, v[7:8]
	s_andn2_b64 vcc, exec, s[26:27]
	v_add_u32_e32 v8, v23, v12
	v_ashrrev_i32_e32 v9, 31, v8
	s_cbranch_vccnz .LBB1_26
; %bb.41:                               ;   in Loop: Header=BB1_28 Depth=2
	v_sub_u32_e32 v10, v11, v12
	v_ashrrev_i32_e32 v13, 31, v12
	v_add_u32_e32 v24, 1, v10
	v_mad_u64_u32 v[10:11], s[4:5], s14, v12, v[3:4]
	v_mul_lo_u32 v12, s15, v12
	v_mul_lo_u32 v13, s14, v13
	v_add_u32_e32 v6, v5, v6
	v_mad_u64_u32 v[6:7], s[4:5], s18, v6, v[7:8]
	s_mov_b32 s23, 0
	v_cmp_lt_i32_e32 vcc, 0, v24
	v_add3_u32 v11, v12, v11, v13
	v_mov_b32_e32 v7, 0xff800000
	s_branch .LBB1_44
.LBB1_42:                               ;   in Loop: Header=BB1_44 Depth=3
	s_or_b64 exec, exec, s[38:39]
.LBB1_43:                               ;   in Loop: Header=BB1_44 Depth=3
	s_or_b64 exec, exec, s[36:37]
	s_add_i32 s23, s23, 1
	v_mov_b32_e32 v12, s11
	v_add_co_u32_e64 v10, s[4:5], s10, v10
	v_addc_co_u32_e64 v11, s[4:5], v11, v12, s[4:5]
	s_cmp_lt_i32 s23, s16
	v_add_u32_e32 v6, s57, v6
	s_cbranch_scc0 .LBB1_27
.LBB1_44:                               ;   Parent Loop BB1_12 Depth=1
                                        ;     Parent Loop BB1_28 Depth=2
                                        ; =>    This Loop Header: Depth=3
                                        ;         Child Loop BB1_47 Depth 4
                                        ;           Child Loop BB1_49 Depth 5
	s_and_saveexec_b64 s[36:37], s[2:3]
	s_cbranch_execz .LBB1_43
; %bb.45:                               ;   in Loop: Header=BB1_44 Depth=3
	v_mov_b32_e32 v13, v11
	s_mov_b32 s58, 0
	s_mov_b64 s[38:39], 0
	v_mov_b32_e32 v25, v6
	v_mov_b32_e32 v12, v10
	s_branch .LBB1_47
.LBB1_46:                               ;   in Loop: Header=BB1_47 Depth=4
	s_or_b64 exec, exec, s[40:41]
	v_mov_b32_e32 v14, s13
	v_add_co_u32_e64 v12, s[4:5], s12, v12
	s_add_i32 s58, s58, 1
	v_addc_co_u32_e64 v13, s[4:5], v13, v14, s[4:5]
	v_cmp_ge_i32_e64 s[4:5], s58, v18
	s_or_b64 s[38:39], s[4:5], s[38:39]
	v_add_u32_e32 v25, s18, v25
	s_andn2_b64 exec, exec, s[38:39]
	s_cbranch_execz .LBB1_42
.LBB1_47:                               ;   Parent Loop BB1_12 Depth=1
                                        ;     Parent Loop BB1_28 Depth=2
                                        ;       Parent Loop BB1_44 Depth=3
                                        ; =>      This Loop Header: Depth=4
                                        ;           Child Loop BB1_49 Depth 5
	s_and_saveexec_b64 s[40:41], vcc
	s_cbranch_execz .LBB1_46
; %bb.48:                               ;   in Loop: Header=BB1_47 Depth=4
	v_mov_b32_e32 v15, v13
	s_mov_b32 s59, 0
	s_mov_b64 s[42:43], 0
	v_mov_b32_e32 v14, v12
.LBB1_49:                               ;   Parent Loop BB1_12 Depth=1
                                        ;     Parent Loop BB1_28 Depth=2
                                        ;       Parent Loop BB1_44 Depth=3
                                        ;         Parent Loop BB1_47 Depth=4
                                        ; =>        This Inner Loop Header: Depth=5
	global_load_dword v26, v[14:15], off
	v_mov_b32_e32 v28, s15
	v_add_co_u32_e64 v14, s[4:5], s14, v14
	v_add_u32_e32 v27, s59, v25
	s_add_i32 s59, s59, 1
	v_addc_co_u32_e64 v15, s[4:5], v15, v28, s[4:5]
	v_ashrrev_i32_e32 v29, 31, v27
	v_cmp_ge_i32_e64 s[4:5], s59, v24
	s_waitcnt vmcnt(0)
	v_cmp_gt_f32_e64 s[6:7], v26, v7
	v_cmp_u_f32_e64 s[8:9], v26, v26
	s_or_b64 s[6:7], s[6:7], s[8:9]
	v_cndmask_b32_e64 v9, v9, v29, s[6:7]
	v_cndmask_b32_e64 v8, v8, v27, s[6:7]
	s_or_b64 s[42:43], s[4:5], s[42:43]
	v_cndmask_b32_e64 v7, v7, v26, s[6:7]
	s_andn2_b64 exec, exec, s[42:43]
	s_cbranch_execnz .LBB1_49
; %bb.50:                               ;   in Loop: Header=BB1_47 Depth=4
	s_or_b64 exec, exec, s[42:43]
	s_branch .LBB1_46
.LBB1_51:
	s_endpgm
.LBB1_52:
                                        ; implicit-def: $sgpr28_sgpr29
	s_branch .LBB1_2
.LBB1_53:
                                        ; implicit-def: $sgpr30_sgpr31
	s_branch .LBB1_5
.LBB1_54:
                                        ; implicit-def: $sgpr26_sgpr27
	s_load_dword s3, s[4:5], 0x64
	s_andn2_b64 vcc, exec, s[10:11]
	s_cbranch_vccz .LBB1_8
	s_branch .LBB1_9
	.section	.rodata,"a",@progbits
	.p2align	6, 0x0
	.amdhsa_kernel _ZN2at6native12_GLOBAL__N_115adaptivemaxpoolIfEEvPKT_PS3_Pliiiiiilllll
		.amdhsa_group_segment_fixed_size 0
		.amdhsa_private_segment_fixed_size 0
		.amdhsa_kernarg_size 344
		.amdhsa_user_sgpr_count 6
		.amdhsa_user_sgpr_private_segment_buffer 1
		.amdhsa_user_sgpr_dispatch_ptr 0
		.amdhsa_user_sgpr_queue_ptr 0
		.amdhsa_user_sgpr_kernarg_segment_ptr 1
		.amdhsa_user_sgpr_dispatch_id 0
		.amdhsa_user_sgpr_flat_scratch_init 0
		.amdhsa_user_sgpr_private_segment_size 0
		.amdhsa_uses_dynamic_stack 0
		.amdhsa_system_sgpr_private_segment_wavefront_offset 0
		.amdhsa_system_sgpr_workgroup_id_x 1
		.amdhsa_system_sgpr_workgroup_id_y 1
		.amdhsa_system_sgpr_workgroup_id_z 0
		.amdhsa_system_sgpr_workgroup_info 0
		.amdhsa_system_vgpr_workitem_id 1
		.amdhsa_next_free_vgpr 30
		.amdhsa_next_free_sgpr 60
		.amdhsa_reserve_vcc 1
		.amdhsa_reserve_flat_scratch 0
		.amdhsa_float_round_mode_32 0
		.amdhsa_float_round_mode_16_64 0
		.amdhsa_float_denorm_mode_32 3
		.amdhsa_float_denorm_mode_16_64 3
		.amdhsa_dx10_clamp 1
		.amdhsa_ieee_mode 1
		.amdhsa_fp16_overflow 0
		.amdhsa_exception_fp_ieee_invalid_op 0
		.amdhsa_exception_fp_denorm_src 0
		.amdhsa_exception_fp_ieee_div_zero 0
		.amdhsa_exception_fp_ieee_overflow 0
		.amdhsa_exception_fp_ieee_underflow 0
		.amdhsa_exception_fp_ieee_inexact 0
		.amdhsa_exception_int_div_zero 0
	.end_amdhsa_kernel
	.section	.text._ZN2at6native12_GLOBAL__N_115adaptivemaxpoolIfEEvPKT_PS3_Pliiiiiilllll,"axG",@progbits,_ZN2at6native12_GLOBAL__N_115adaptivemaxpoolIfEEvPKT_PS3_Pliiiiiilllll,comdat
.Lfunc_end1:
	.size	_ZN2at6native12_GLOBAL__N_115adaptivemaxpoolIfEEvPKT_PS3_Pliiiiiilllll, .Lfunc_end1-_ZN2at6native12_GLOBAL__N_115adaptivemaxpoolIfEEvPKT_PS3_Pliiiiiilllll
                                        ; -- End function
	.set _ZN2at6native12_GLOBAL__N_115adaptivemaxpoolIfEEvPKT_PS3_Pliiiiiilllll.num_vgpr, 30
	.set _ZN2at6native12_GLOBAL__N_115adaptivemaxpoolIfEEvPKT_PS3_Pliiiiiilllll.num_agpr, 0
	.set _ZN2at6native12_GLOBAL__N_115adaptivemaxpoolIfEEvPKT_PS3_Pliiiiiilllll.numbered_sgpr, 60
	.set _ZN2at6native12_GLOBAL__N_115adaptivemaxpoolIfEEvPKT_PS3_Pliiiiiilllll.num_named_barrier, 0
	.set _ZN2at6native12_GLOBAL__N_115adaptivemaxpoolIfEEvPKT_PS3_Pliiiiiilllll.private_seg_size, 0
	.set _ZN2at6native12_GLOBAL__N_115adaptivemaxpoolIfEEvPKT_PS3_Pliiiiiilllll.uses_vcc, 1
	.set _ZN2at6native12_GLOBAL__N_115adaptivemaxpoolIfEEvPKT_PS3_Pliiiiiilllll.uses_flat_scratch, 0
	.set _ZN2at6native12_GLOBAL__N_115adaptivemaxpoolIfEEvPKT_PS3_Pliiiiiilllll.has_dyn_sized_stack, 0
	.set _ZN2at6native12_GLOBAL__N_115adaptivemaxpoolIfEEvPKT_PS3_Pliiiiiilllll.has_recursion, 0
	.set _ZN2at6native12_GLOBAL__N_115adaptivemaxpoolIfEEvPKT_PS3_Pliiiiiilllll.has_indirect_call, 0
	.section	.AMDGPU.csdata,"",@progbits
; Kernel info:
; codeLenInByte = 7268
; TotalNumSgprs: 64
; NumVgprs: 30
; ScratchSize: 0
; MemoryBound: 0
; FloatMode: 240
; IeeeMode: 1
; LDSByteSize: 0 bytes/workgroup (compile time only)
; SGPRBlocks: 7
; VGPRBlocks: 7
; NumSGPRsForWavesPerEU: 64
; NumVGPRsForWavesPerEU: 30
; Occupancy: 8
; WaveLimiterHint : 0
; COMPUTE_PGM_RSRC2:SCRATCH_EN: 0
; COMPUTE_PGM_RSRC2:USER_SGPR: 6
; COMPUTE_PGM_RSRC2:TRAP_HANDLER: 0
; COMPUTE_PGM_RSRC2:TGID_X_EN: 1
; COMPUTE_PGM_RSRC2:TGID_Y_EN: 1
; COMPUTE_PGM_RSRC2:TGID_Z_EN: 0
; COMPUTE_PGM_RSRC2:TIDIG_COMP_CNT: 1
	.section	.text._ZN2at6native12_GLOBAL__N_115adaptivemaxpoolIN3c104HalfEEEvPKT_PS5_Pliiiiiilllll,"axG",@progbits,_ZN2at6native12_GLOBAL__N_115adaptivemaxpoolIN3c104HalfEEEvPKT_PS5_Pliiiiiilllll,comdat
	.globl	_ZN2at6native12_GLOBAL__N_115adaptivemaxpoolIN3c104HalfEEEvPKT_PS5_Pliiiiiilllll ; -- Begin function _ZN2at6native12_GLOBAL__N_115adaptivemaxpoolIN3c104HalfEEEvPKT_PS5_Pliiiiiilllll
	.p2align	8
	.type	_ZN2at6native12_GLOBAL__N_115adaptivemaxpoolIN3c104HalfEEEvPKT_PS5_Pliiiiiilllll,@function
_ZN2at6native12_GLOBAL__N_115adaptivemaxpoolIN3c104HalfEEEvPKT_PS5_Pliiiiiilllll: ; @_ZN2at6native12_GLOBAL__N_115adaptivemaxpoolIN3c104HalfEEEvPKT_PS5_Pliiiiiilllll
; %bb.0:
	s_load_dwordx2 s[0:1], s[4:5], 0x50
	s_load_dwordx4 s[16:19], s[4:5], 0x18
	s_load_dwordx2 s[24:25], s[4:5], 0x28
	s_mov_b32 s8, 0
	s_waitcnt lgkmcnt(0)
	s_add_u32 s0, s0, s6
	s_addc_u32 s1, s1, 0
	s_ashr_i32 s3, s19, 31
	s_mov_b32 s2, s19
	s_or_b64 s[10:11], s[0:1], s[2:3]
	s_mov_b32 s9, s11
	s_cmp_lg_u64 s[8:9], 0
	s_cbranch_scc0 .LBB2_52
; %bb.1:
	s_ashr_i32 s8, s3, 31
	s_add_u32 s10, s2, s8
	s_mov_b32 s9, s8
	s_addc_u32 s11, s3, s8
	s_xor_b64 s[12:13], s[10:11], s[8:9]
	v_cvt_f32_u32_e32 v2, s12
	v_cvt_f32_u32_e32 v3, s13
	s_sub_u32 s6, 0, s12
	s_subb_u32 s19, 0, s13
	v_madmk_f32 v2, v3, 0x4f800000, v2
	v_rcp_f32_e32 v2, v2
	v_mul_f32_e32 v2, 0x5f7ffffc, v2
	v_mul_f32_e32 v3, 0x2f800000, v2
	v_trunc_f32_e32 v3, v3
	v_madmk_f32 v2, v3, 0xcf800000, v2
	v_cvt_u32_f32_e32 v3, v3
	v_cvt_u32_f32_e32 v2, v2
	v_readfirstlane_b32 s20, v3
	v_readfirstlane_b32 s14, v2
	s_mul_i32 s15, s6, s20
	s_mul_hi_u32 s22, s6, s14
	s_mul_i32 s21, s19, s14
	s_add_i32 s15, s22, s15
	s_add_i32 s15, s15, s21
	s_mul_i32 s23, s6, s14
	s_mul_i32 s22, s14, s15
	s_mul_hi_u32 s26, s14, s23
	s_mul_hi_u32 s21, s14, s15
	s_add_u32 s22, s26, s22
	s_addc_u32 s21, 0, s21
	s_mul_hi_u32 s27, s20, s23
	s_mul_i32 s23, s20, s23
	s_add_u32 s22, s22, s23
	s_mul_hi_u32 s26, s20, s15
	s_addc_u32 s21, s21, s27
	s_addc_u32 s22, s26, 0
	s_mul_i32 s15, s20, s15
	s_add_u32 s15, s21, s15
	s_addc_u32 s21, 0, s22
	s_add_u32 s22, s14, s15
	s_cselect_b64 s[14:15], -1, 0
	s_cmp_lg_u64 s[14:15], 0
	s_addc_u32 s20, s20, s21
	s_mul_i32 s14, s6, s20
	s_mul_hi_u32 s15, s6, s22
	s_add_i32 s14, s15, s14
	s_mul_i32 s19, s19, s22
	s_add_i32 s14, s14, s19
	s_mul_i32 s6, s6, s22
	s_mul_hi_u32 s19, s20, s6
	s_mul_i32 s21, s20, s6
	s_mul_i32 s26, s22, s14
	s_mul_hi_u32 s6, s22, s6
	s_mul_hi_u32 s23, s22, s14
	s_add_u32 s6, s6, s26
	s_addc_u32 s23, 0, s23
	s_add_u32 s6, s6, s21
	s_mul_hi_u32 s15, s20, s14
	s_addc_u32 s6, s23, s19
	s_addc_u32 s15, s15, 0
	s_mul_i32 s14, s20, s14
	s_add_u32 s6, s6, s14
	s_addc_u32 s19, 0, s15
	s_add_u32 s6, s22, s6
	s_cselect_b64 s[14:15], -1, 0
	s_cmp_lg_u64 s[14:15], 0
	s_addc_u32 s19, s20, s19
	s_ashr_i32 s14, s1, 31
	s_add_u32 s20, s0, s14
	s_mov_b32 s15, s14
	s_addc_u32 s21, s1, s14
	s_xor_b64 s[20:21], s[20:21], s[14:15]
	s_mul_i32 s23, s20, s19
	s_mul_hi_u32 s26, s20, s6
	s_mul_hi_u32 s22, s20, s19
	s_add_u32 s23, s26, s23
	s_addc_u32 s22, 0, s22
	s_mul_hi_u32 s27, s21, s6
	s_mul_i32 s6, s21, s6
	s_add_u32 s6, s23, s6
	s_mul_hi_u32 s26, s21, s19
	s_addc_u32 s6, s22, s27
	s_addc_u32 s22, s26, 0
	s_mul_i32 s19, s21, s19
	s_add_u32 s6, s6, s19
	s_addc_u32 s19, 0, s22
	s_mul_i32 s22, s12, s19
	s_mul_hi_u32 s23, s12, s6
	s_add_i32 s22, s23, s22
	s_mul_i32 s23, s13, s6
	s_add_i32 s28, s22, s23
	s_sub_i32 s26, s21, s28
	s_mul_i32 s22, s12, s6
	s_sub_u32 s20, s20, s22
	s_cselect_b64 s[22:23], -1, 0
	s_cmp_lg_u64 s[22:23], 0
	s_subb_u32 s29, s26, s13
	s_sub_u32 s30, s20, s12
	s_cselect_b64 s[26:27], -1, 0
	s_cmp_lg_u64 s[26:27], 0
	s_subb_u32 s26, s29, 0
	s_cmp_ge_u32 s26, s13
	s_cselect_b32 s27, -1, 0
	s_cmp_ge_u32 s30, s12
	s_cselect_b32 s29, -1, 0
	s_cmp_eq_u32 s26, s13
	s_cselect_b32 s26, s29, s27
	s_add_u32 s27, s6, 1
	s_addc_u32 s29, s19, 0
	s_add_u32 s30, s6, 2
	s_addc_u32 s31, s19, 0
	s_cmp_lg_u32 s26, 0
	s_cselect_b32 s26, s30, s27
	s_cselect_b32 s27, s31, s29
	s_cmp_lg_u64 s[22:23], 0
	s_subb_u32 s21, s21, s28
	s_cmp_ge_u32 s21, s13
	s_cselect_b32 s22, -1, 0
	s_cmp_ge_u32 s20, s12
	s_cselect_b32 s12, -1, 0
	s_cmp_eq_u32 s21, s13
	s_cselect_b32 s12, s12, s22
	s_cmp_lg_u32 s12, 0
	s_cselect_b32 s13, s27, s19
	s_cselect_b32 s12, s26, s6
	s_xor_b64 s[8:9], s[14:15], s[8:9]
	s_xor_b64 s[12:13], s[12:13], s[8:9]
	s_sub_u32 s28, s12, s8
	s_subb_u32 s29, s13, s9
	s_cbranch_execnz .LBB2_3
.LBB2_2:
	v_cvt_f32_u32_e32 v2, s2
	s_sub_i32 s6, 0, s2
	s_mov_b32 s29, 0
	v_rcp_iflag_f32_e32 v2, v2
	v_mul_f32_e32 v2, 0x4f7ffffe, v2
	v_cvt_u32_f32_e32 v2, v2
	v_readfirstlane_b32 s8, v2
	s_mul_i32 s6, s6, s8
	s_mul_hi_u32 s6, s8, s6
	s_add_i32 s8, s8, s6
	s_mul_hi_u32 s6, s0, s8
	s_mul_i32 s9, s6, s2
	s_sub_i32 s9, s0, s9
	s_add_i32 s8, s6, 1
	s_sub_i32 s10, s9, s2
	s_cmp_ge_u32 s9, s2
	s_cselect_b32 s6, s8, s6
	s_cselect_b32 s9, s10, s9
	s_add_i32 s8, s6, 1
	s_cmp_ge_u32 s9, s2
	s_cselect_b32 s28, s8, s6
.LBB2_3:
	s_mul_i32 s6, s28, s3
	s_mul_hi_u32 s8, s28, s2
	s_add_i32 s6, s8, s6
	s_mul_i32 s8, s29, s2
	s_add_i32 s6, s6, s8
	s_mul_i32 s8, s28, s2
	s_sub_u32 s20, s0, s8
	s_subb_u32 s21, s1, s6
	s_abs_i32 s8, s2
	v_cvt_f32_u32_e32 v2, s8
	s_sub_i32 s12, 0, s8
	s_abs_i32 s11, s20
	s_xor_b32 s9, s20, s2
	v_rcp_iflag_f32_e32 v2, v2
	s_ashr_i32 s6, s16, 31
	s_ashr_i32 s9, s9, 31
	s_mov_b32 s10, 0
	v_mul_f32_e32 v2, 0x4f7ffffe, v2
	v_cvt_u32_f32_e32 v2, v2
	v_readfirstlane_b32 s13, v2
	s_mul_i32 s12, s12, s13
	s_mul_hi_u32 s12, s13, s12
	s_add_i32 s13, s13, s12
	s_mul_hi_u32 s12, s11, s13
	s_mul_i32 s13, s12, s8
	s_sub_i32 s11, s11, s13
	s_add_i32 s13, s12, 1
	s_sub_i32 s14, s11, s8
	s_cmp_ge_u32 s11, s8
	s_cselect_b32 s12, s13, s12
	s_cselect_b32 s11, s14, s11
	s_add_i32 s13, s12, 1
	s_cmp_ge_u32 s11, s8
	s_cselect_b32 s8, s13, s12
	s_xor_b32 s8, s8, s9
	s_sub_i32 s19, s8, s9
	s_mul_i32 s8, s19, s2
	s_sub_i32 s8, s20, s8
	s_mul_hi_i32 s9, s8, s16
	s_mul_i32 s8, s8, s16
	s_or_b64 s[12:13], s[8:9], s[2:3]
	s_mov_b32 s11, s13
	s_cmp_lg_u64 s[10:11], 0
	s_cbranch_scc0 .LBB2_53
; %bb.4:
	s_ashr_i32 s10, s3, 31
	s_add_u32 s12, s2, s10
	s_mov_b32 s11, s10
	s_addc_u32 s13, s3, s10
	s_xor_b64 s[14:15], s[12:13], s[10:11]
	v_cvt_f32_u32_e32 v2, s14
	v_cvt_f32_u32_e32 v3, s15
	s_sub_u32 s26, 0, s14
	s_subb_u32 s27, 0, s15
	v_madmk_f32 v2, v3, 0x4f800000, v2
	v_rcp_f32_e32 v2, v2
	v_mul_f32_e32 v2, 0x5f7ffffc, v2
	v_mul_f32_e32 v3, 0x2f800000, v2
	v_trunc_f32_e32 v3, v3
	v_madmk_f32 v2, v3, 0xcf800000, v2
	v_cvt_u32_f32_e32 v3, v3
	v_cvt_u32_f32_e32 v2, v2
	v_readfirstlane_b32 s30, v3
	v_readfirstlane_b32 s22, v2
	s_mul_i32 s23, s26, s30
	s_mul_hi_u32 s33, s26, s22
	s_mul_i32 s31, s27, s22
	s_add_i32 s23, s33, s23
	s_add_i32 s23, s23, s31
	s_mul_i32 s34, s26, s22
	s_mul_i32 s33, s22, s23
	s_mul_hi_u32 s35, s22, s34
	s_mul_hi_u32 s31, s22, s23
	s_add_u32 s33, s35, s33
	s_addc_u32 s31, 0, s31
	s_mul_hi_u32 s36, s30, s34
	s_mul_i32 s34, s30, s34
	s_add_u32 s33, s33, s34
	s_mul_hi_u32 s35, s30, s23
	s_addc_u32 s31, s31, s36
	s_addc_u32 s33, s35, 0
	s_mul_i32 s23, s30, s23
	s_add_u32 s23, s31, s23
	s_addc_u32 s31, 0, s33
	s_add_u32 s33, s22, s23
	s_cselect_b64 s[22:23], -1, 0
	s_cmp_lg_u64 s[22:23], 0
	s_addc_u32 s30, s30, s31
	s_mul_i32 s22, s26, s30
	s_mul_hi_u32 s23, s26, s33
	s_add_i32 s22, s23, s22
	s_mul_i32 s27, s27, s33
	s_add_i32 s22, s22, s27
	s_mul_i32 s26, s26, s33
	s_mul_hi_u32 s27, s30, s26
	s_mul_i32 s31, s30, s26
	s_mul_i32 s35, s33, s22
	s_mul_hi_u32 s26, s33, s26
	s_mul_hi_u32 s34, s33, s22
	s_add_u32 s26, s26, s35
	s_addc_u32 s34, 0, s34
	s_add_u32 s26, s26, s31
	s_mul_hi_u32 s23, s30, s22
	s_addc_u32 s26, s34, s27
	s_addc_u32 s23, s23, 0
	s_mul_i32 s22, s30, s22
	s_add_u32 s22, s26, s22
	s_addc_u32 s26, 0, s23
	s_add_u32 s31, s33, s22
	s_cselect_b64 s[22:23], -1, 0
	s_cmp_lg_u64 s[22:23], 0
	s_addc_u32 s30, s30, s26
	s_ashr_i32 s22, s9, 31
	s_add_u32 s26, s8, s22
	s_mov_b32 s23, s22
	s_addc_u32 s27, s9, s22
	s_xor_b64 s[26:27], s[26:27], s[22:23]
	s_mul_i32 s33, s26, s30
	s_mul_hi_u32 s34, s26, s31
	s_mul_hi_u32 s9, s26, s30
	s_add_u32 s33, s34, s33
	s_addc_u32 s9, 0, s9
	s_mul_hi_u32 s35, s27, s31
	s_mul_i32 s31, s27, s31
	s_add_u32 s31, s33, s31
	s_mul_hi_u32 s34, s27, s30
	s_addc_u32 s9, s9, s35
	s_addc_u32 s31, s34, 0
	s_mul_i32 s30, s27, s30
	s_add_u32 s9, s9, s30
	s_addc_u32 s33, 0, s31
	s_mul_i32 s30, s14, s33
	s_mul_hi_u32 s31, s14, s9
	s_add_i32 s30, s31, s30
	s_mul_i32 s31, s15, s9
	s_add_i32 s36, s30, s31
	s_sub_i32 s34, s27, s36
	s_mul_i32 s30, s14, s9
	s_sub_u32 s26, s26, s30
	s_cselect_b64 s[30:31], -1, 0
	s_cmp_lg_u64 s[30:31], 0
	s_subb_u32 s37, s34, s15
	s_sub_u32 s38, s26, s14
	s_cselect_b64 s[34:35], -1, 0
	s_cmp_lg_u64 s[34:35], 0
	s_subb_u32 s34, s37, 0
	s_cmp_ge_u32 s34, s15
	s_cselect_b32 s35, -1, 0
	s_cmp_ge_u32 s38, s14
	s_cselect_b32 s37, -1, 0
	s_cmp_eq_u32 s34, s15
	s_cselect_b32 s34, s37, s35
	s_add_u32 s35, s9, 1
	s_addc_u32 s37, s33, 0
	s_add_u32 s38, s9, 2
	s_addc_u32 s39, s33, 0
	s_cmp_lg_u32 s34, 0
	s_cselect_b32 s34, s38, s35
	s_cselect_b32 s35, s39, s37
	s_cmp_lg_u64 s[30:31], 0
	s_subb_u32 s27, s27, s36
	s_cmp_ge_u32 s27, s15
	s_cselect_b32 s30, -1, 0
	s_cmp_ge_u32 s26, s14
	s_cselect_b32 s14, -1, 0
	s_cmp_eq_u32 s27, s15
	s_cselect_b32 s14, s14, s30
	s_cmp_lg_u32 s14, 0
	s_cselect_b32 s15, s35, s33
	s_cselect_b32 s14, s34, s9
	s_xor_b64 s[10:11], s[22:23], s[10:11]
	s_xor_b64 s[14:15], s[14:15], s[10:11]
	s_sub_u32 s30, s14, s10
	s_subb_u32 s31, s15, s11
	s_cbranch_execnz .LBB2_6
.LBB2_5:
	v_cvt_f32_u32_e32 v2, s2
	s_sub_i32 s9, 0, s2
	s_mov_b32 s31, 0
	v_rcp_iflag_f32_e32 v2, v2
	v_mul_f32_e32 v2, 0x4f7ffffe, v2
	v_cvt_u32_f32_e32 v2, v2
	v_readfirstlane_b32 s10, v2
	s_mul_i32 s9, s9, s10
	s_mul_hi_u32 s9, s10, s9
	s_add_i32 s10, s10, s9
	s_mul_hi_u32 s9, s8, s10
	s_mul_i32 s11, s9, s2
	s_sub_i32 s8, s8, s11
	s_add_i32 s10, s9, 1
	s_sub_i32 s11, s8, s2
	s_cmp_ge_u32 s8, s2
	s_cselect_b32 s9, s10, s9
	s_cselect_b32 s8, s11, s8
	s_add_i32 s10, s9, 1
	s_cmp_ge_u32 s8, s2
	s_cselect_b32 s30, s10, s9
.LBB2_6:
	s_add_u32 s8, s20, 1
	s_addc_u32 s9, s21, 0
	s_mul_i32 s10, s8, s6
	s_mul_hi_u32 s11, s8, s16
	s_add_i32 s10, s11, s10
	s_mul_i32 s9, s9, s16
	s_add_i32 s10, s10, s9
	s_mul_i32 s8, s8, s16
	s_add_u32 s8, s8, -1
	s_addc_u32 s9, s10, -1
	s_or_b64 s[10:11], s[8:9], s[2:3]
	s_mov_b32 s10, 0
	s_cmp_lg_u64 s[10:11], 0
	s_mov_b64 s[10:11], -1
	s_cbranch_scc0 .LBB2_54
; %bb.7:
	s_ashr_i32 s12, s3, 31
	s_add_u32 s10, s2, s12
	s_mov_b32 s13, s12
	s_addc_u32 s11, s3, s12
	s_xor_b64 s[14:15], s[10:11], s[12:13]
	v_cvt_f32_u32_e32 v2, s14
	v_cvt_f32_u32_e32 v3, s15
	s_sub_u32 s3, 0, s14
	s_subb_u32 s22, 0, s15
	v_madmk_f32 v2, v3, 0x4f800000, v2
	v_rcp_f32_e32 v2, v2
	v_mul_f32_e32 v2, 0x5f7ffffc, v2
	v_mul_f32_e32 v3, 0x2f800000, v2
	v_trunc_f32_e32 v3, v3
	v_madmk_f32 v2, v3, 0xcf800000, v2
	v_cvt_u32_f32_e32 v3, v3
	v_cvt_u32_f32_e32 v2, v2
	v_readfirstlane_b32 s23, v3
	v_readfirstlane_b32 s20, v2
	s_mul_i32 s21, s3, s23
	s_mul_hi_u32 s27, s3, s20
	s_mul_i32 s26, s22, s20
	s_add_i32 s21, s27, s21
	s_add_i32 s21, s21, s26
	s_mul_i32 s33, s3, s20
	s_mul_i32 s27, s20, s21
	s_mul_hi_u32 s34, s20, s33
	s_mul_hi_u32 s26, s20, s21
	s_add_u32 s27, s34, s27
	s_addc_u32 s26, 0, s26
	s_mul_hi_u32 s35, s23, s33
	s_mul_i32 s33, s23, s33
	s_add_u32 s27, s27, s33
	s_mul_hi_u32 s34, s23, s21
	s_addc_u32 s26, s26, s35
	s_addc_u32 s27, s34, 0
	s_mul_i32 s21, s23, s21
	s_add_u32 s21, s26, s21
	s_addc_u32 s26, 0, s27
	s_add_u32 s27, s20, s21
	s_cselect_b64 s[20:21], -1, 0
	s_cmp_lg_u64 s[20:21], 0
	s_addc_u32 s23, s23, s26
	s_mul_i32 s20, s3, s23
	s_mul_hi_u32 s21, s3, s27
	s_add_i32 s20, s21, s20
	s_mul_i32 s22, s22, s27
	s_add_i32 s20, s20, s22
	s_mul_i32 s3, s3, s27
	s_mul_hi_u32 s22, s23, s3
	s_mul_i32 s26, s23, s3
	s_mul_i32 s34, s27, s20
	s_mul_hi_u32 s3, s27, s3
	s_mul_hi_u32 s33, s27, s20
	s_add_u32 s3, s3, s34
	s_addc_u32 s33, 0, s33
	s_add_u32 s3, s3, s26
	s_mul_hi_u32 s21, s23, s20
	s_addc_u32 s3, s33, s22
	s_addc_u32 s21, s21, 0
	s_mul_i32 s20, s23, s20
	s_add_u32 s3, s3, s20
	s_addc_u32 s22, 0, s21
	s_add_u32 s3, s27, s3
	s_cselect_b64 s[20:21], -1, 0
	s_cmp_lg_u64 s[20:21], 0
	s_addc_u32 s26, s23, s22
	s_ashr_i32 s20, s9, 31
	s_add_u32 s22, s8, s20
	s_mov_b32 s21, s20
	s_addc_u32 s23, s9, s20
	s_xor_b64 s[22:23], s[22:23], s[20:21]
	s_mul_i32 s27, s22, s26
	s_mul_hi_u32 s33, s22, s3
	s_mul_hi_u32 s9, s22, s26
	s_add_u32 s27, s33, s27
	s_addc_u32 s9, 0, s9
	s_mul_hi_u32 s34, s23, s3
	s_mul_i32 s3, s23, s3
	s_add_u32 s3, s27, s3
	s_mul_hi_u32 s33, s23, s26
	s_addc_u32 s3, s9, s34
	s_addc_u32 s9, s33, 0
	s_mul_i32 s26, s23, s26
	s_add_u32 s3, s3, s26
	s_addc_u32 s9, 0, s9
	s_mul_i32 s26, s14, s9
	s_mul_hi_u32 s27, s14, s3
	s_add_i32 s26, s27, s26
	s_mul_i32 s27, s15, s3
	s_add_i32 s33, s26, s27
	s_sub_i32 s34, s23, s33
	s_mul_i32 s26, s14, s3
	s_sub_u32 s22, s22, s26
	s_cselect_b64 s[26:27], -1, 0
	s_cmp_lg_u64 s[26:27], 0
	s_subb_u32 s36, s34, s15
	s_sub_u32 s37, s22, s14
	s_cselect_b64 s[34:35], -1, 0
	s_cmp_lg_u64 s[34:35], 0
	s_subb_u32 s34, s36, 0
	s_cmp_ge_u32 s34, s15
	s_cselect_b32 s35, -1, 0
	s_cmp_ge_u32 s37, s14
	s_cselect_b32 s36, -1, 0
	s_cmp_eq_u32 s34, s15
	s_cselect_b32 s34, s36, s35
	s_add_u32 s35, s3, 1
	s_addc_u32 s36, s9, 0
	s_add_u32 s37, s3, 2
	s_addc_u32 s38, s9, 0
	s_cmp_lg_u32 s34, 0
	s_cselect_b32 s34, s37, s35
	s_cselect_b32 s35, s38, s36
	s_cmp_lg_u64 s[26:27], 0
	s_subb_u32 s23, s23, s33
	s_cmp_ge_u32 s23, s15
	s_cselect_b32 s26, -1, 0
	s_cmp_ge_u32 s22, s14
	s_cselect_b32 s14, -1, 0
	s_cmp_eq_u32 s23, s15
	s_cselect_b32 s14, s14, s26
	s_cmp_lg_u32 s14, 0
	s_cselect_b32 s15, s35, s9
	s_cselect_b32 s14, s34, s3
	s_xor_b64 s[12:13], s[20:21], s[12:13]
	s_xor_b64 s[14:15], s[14:15], s[12:13]
	s_sub_u32 s26, s14, s12
	s_load_dword s3, s[4:5], 0x64
	s_cbranch_execnz .LBB2_9
.LBB2_8:
	v_cvt_f32_u32_e32 v2, s2
	s_sub_i32 s9, 0, s2
	v_rcp_iflag_f32_e32 v2, v2
	v_mul_f32_e32 v2, 0x4f7ffffe, v2
	v_cvt_u32_f32_e32 v2, v2
	v_readfirstlane_b32 s10, v2
	s_mul_i32 s9, s9, s10
	s_mul_hi_u32 s9, s10, s9
	s_add_i32 s10, s10, s9
	s_mul_hi_u32 s9, s8, s10
	s_mul_i32 s11, s9, s2
	s_sub_i32 s8, s8, s11
	s_add_i32 s10, s9, 1
	s_sub_i32 s11, s8, s2
	s_cmp_ge_u32 s8, s2
	s_cselect_b32 s9, s10, s9
	s_cselect_b32 s8, s11, s8
	s_add_i32 s10, s9, 1
	s_cmp_ge_u32 s8, s2
	s_cselect_b32 s26, s10, s9
.LBB2_9:
	s_waitcnt lgkmcnt(0)
	s_lshr_b32 s2, s3, 16
	s_mul_i32 s7, s7, s2
	v_add_u32_e32 v16, s7, v1
	v_cmp_gt_i32_e32 vcc, s24, v16
	s_and_saveexec_b64 s[8:9], vcc
	s_cbranch_execz .LBB2_51
; %bb.10:
	s_mul_i32 s6, s19, s6
	s_mul_hi_u32 s7, s19, s16
	s_add_i32 s7, s7, s6
	s_mul_i32 s56, s19, s16
	s_add_u32 s6, s30, s56
	s_addc_u32 s7, s31, s7
	s_load_dwordx8 s[8:15], s[4:5], 0x30
	s_load_dword s50, s[4:5], 0x5c
	s_load_dwordx4 s[20:23], s[4:5], 0x0
	s_load_dwordx2 s[34:35], s[4:5], 0x10
	s_bfe_i64 s[4:5], s[28:29], 0x200000
	s_bfe_i64 s[36:37], s[6:7], 0x200000
	s_mul_i32 s7, s25, s24
	s_sub_i32 s16, s26, s6
	s_mul_hi_i32 s4, s25, s24
	s_mul_i32 s1, s7, s1
	s_mul_hi_u32 s26, s7, s0
	s_add_i32 s1, s26, s1
	s_mul_i32 s4, s4, s0
	s_mov_b32 s33, s24
	s_add_i32 s1, s1, s4
	s_mul_i32 s0, s7, s0
	s_add_i32 s16, s16, 1
	s_ashr_i32 s19, s24, 31
	s_ashr_i32 s44, s25, 31
	s_lshl_b64 s[26:27], s[0:1], 1
	v_cvt_f32_u32_e32 v1, s33
	s_waitcnt lgkmcnt(0)
	s_add_u32 s46, s22, s26
	s_addc_u32 s47, s23, s27
	s_lshl_b64 s[0:1], s[0:1], 3
	s_add_u32 s48, s34, s0
	s_addc_u32 s49, s35, s1
	s_and_b32 s51, s3, 0xffff
	s_ashr_i32 s52, s17, 31
	s_ashr_i32 s54, s18, 31
	v_rcp_iflag_f32_e32 v1, v1
	s_mul_i32 s50, s50, s2
	s_cmp_gt_i32 s16, 0
	s_mul_hi_u32 s2, s10, s6
	s_mul_i32 s3, s10, s37
	s_mul_hi_u32 s4, s8, s28
	s_mul_i32 s5, s8, s5
	s_cselect_b64 s[26:27], -1, 0
	s_add_i32 s2, s2, s3
	s_mul_i32 s3, s11, s6
	s_add_i32 s4, s4, s5
	s_mul_i32 s5, s9, s28
	;; [unrolled: 2-line block ×4, first 2 shown]
	s_lshl_b64 s[2:3], s[2:3], 1
	s_lshl_b64 s[4:5], s[4:5], 1
	v_mul_f32_e32 v1, 0x4f7ffffe, v1
	s_add_u32 s2, s2, s4
	v_cvt_u32_f32_e32 v17, v1
	s_addc_u32 s3, s3, s5
	s_add_u32 s20, s20, s2
	s_mov_b32 s45, s25
	s_mov_b32 s53, s17
	v_cmp_gt_i32_e64 s[0:1], s25, v0
	s_mul_i32 s55, s17, s6
	s_mov_b32 s22, 0
	s_addc_u32 s21, s21, s3
	s_lshl_b64 s[12:13], s[12:13], 1
	s_lshl_b64 s[14:15], s[14:15], 1
	;; [unrolled: 1-line block ×3, first 2 shown]
	s_add_i32 s56, s56, s30
	s_mul_i32 s57, s18, s17
	s_mov_b64 s[28:29], 0
	v_mov_b32_e32 v2, 0
	s_branch .LBB2_12
.LBB2_11:                               ;   in Loop: Header=BB2_12 Depth=1
	s_or_b64 exec, exec, s[30:31]
	v_add_u32_e32 v16, s50, v16
	v_cmp_le_i32_e32 vcc, s24, v16
	s_or_b64 s[28:29], vcc, s[28:29]
	s_andn2_b64 exec, exec, s[28:29]
	s_cbranch_execz .LBB2_51
.LBB2_12:                               ; =>This Loop Header: Depth=1
                                        ;     Child Loop BB2_28 Depth 2
                                        ;       Child Loop BB2_44 Depth 3
                                        ;         Child Loop BB2_47 Depth 4
                                        ;           Child Loop BB2_49 Depth 5
	v_ashrrev_i32_e32 v8, 31, v16
	v_or_b32_e32 v4, s19, v8
	v_mov_b32_e32 v3, v2
	v_cmp_ne_u64_e32 vcc, 0, v[3:4]
                                        ; implicit-def: $vgpr5_vgpr6
	s_and_saveexec_b64 s[2:3], vcc
	s_xor_b64 s[2:3], exec, s[2:3]
	s_cbranch_execz .LBB2_14
; %bb.13:                               ;   in Loop: Header=BB2_12 Depth=1
	s_ashr_i32 s4, s33, 31
	s_add_i32 s5, s33, s4
	s_xor_b32 s5, s5, s4
	v_cvt_f32_u32_e32 v1, s5
	s_sub_i32 s6, 0, s5
	v_ashrrev_i32_e32 v4, 31, v16
	v_add_u32_e32 v5, v16, v4
	v_rcp_iflag_f32_e32 v1, v1
	v_xor_b32_e32 v5, v5, v4
	v_mul_f32_e32 v1, 0x4f7ffffe, v1
	v_cvt_u32_f32_e32 v1, v1
	v_mul_lo_u32 v3, s6, v1
	v_mul_hi_u32 v3, v1, v3
	v_add_u32_e32 v1, v1, v3
	v_mul_hi_u32 v1, v5, v1
	v_mul_lo_u32 v3, v1, s5
	v_add_u32_e32 v6, 1, v1
	v_sub_u32_e32 v3, v5, v3
	v_subrev_u32_e32 v5, s5, v3
	v_cmp_le_u32_e32 vcc, s5, v3
	v_cndmask_b32_e32 v3, v3, v5, vcc
	v_cndmask_b32_e32 v1, v1, v6, vcc
	v_add_u32_e32 v5, 1, v1
	v_cmp_le_u32_e32 vcc, s5, v3
	v_cndmask_b32_e32 v1, v1, v5, vcc
	v_xor_b32_e32 v3, s4, v4
	v_xor_b32_e32 v1, v1, v3
	v_sub_u32_e32 v5, v1, v3
	v_ashrrev_i32_e32 v6, 31, v5
.LBB2_14:                               ;   in Loop: Header=BB2_12 Depth=1
	s_andn2_saveexec_b64 s[2:3], s[2:3]
	s_cbranch_execz .LBB2_16
; %bb.15:                               ;   in Loop: Header=BB2_12 Depth=1
	s_sub_i32 s4, 0, s33
	v_mul_lo_u32 v1, s4, v17
	v_mul_hi_u32 v1, v17, v1
	v_add_u32_e32 v1, v17, v1
	v_mul_hi_u32 v1, v16, v1
	v_mul_lo_u32 v3, v1, s33
	v_add_u32_e32 v4, 1, v1
	v_sub_u32_e32 v3, v16, v3
	v_subrev_u32_e32 v5, s33, v3
	v_cmp_le_u32_e32 vcc, s33, v3
	v_cndmask_b32_e32 v3, v3, v5, vcc
	v_cndmask_b32_e32 v1, v1, v4, vcc
	v_add_u32_e32 v4, 1, v1
	v_cmp_le_u32_e32 vcc, s33, v3
	v_cndmask_b32_e32 v1, v1, v4, vcc
	v_mov_b32_e32 v6, v2
	v_mov_b32_e32 v5, v1
.LBB2_16:                               ;   in Loop: Header=BB2_12 Depth=1
	s_or_b64 exec, exec, s[2:3]
	v_mul_lo_u32 v1, v6, s33
	v_mul_lo_u32 v6, v5, s19
	v_mad_u64_u32 v[3:4], s[2:3], v5, s33, 0
	v_add3_u32 v1, v4, v6, v1
	v_sub_co_u32_e32 v3, vcc, v16, v3
	v_subb_co_u32_e32 v1, vcc, v8, v1, vcc
	v_mul_lo_u32 v1, v1, s53
	v_mul_lo_u32 v6, v3, s52
	v_mad_u64_u32 v[3:4], s[2:3], v3, s53, 0
	v_add3_u32 v4, v4, v6, v1
	v_or_b32_e32 v7, s19, v4
	v_mov_b32_e32 v6, v2
	v_cmp_ne_u64_e32 vcc, 0, v[6:7]
                                        ; implicit-def: $vgpr6_vgpr7
	s_and_saveexec_b64 s[2:3], vcc
	s_xor_b64 s[4:5], exec, s[2:3]
	s_cbranch_execz .LBB2_18
; %bb.17:                               ;   in Loop: Header=BB2_12 Depth=1
	s_ashr_i32 s6, s19, 31
	s_add_u32 s2, s33, s6
	s_mov_b32 s7, s6
	s_addc_u32 s3, s19, s6
	s_xor_b64 s[8:9], s[2:3], s[6:7]
	v_cvt_f32_u32_e32 v1, s8
	v_cvt_f32_u32_e32 v6, s9
	s_sub_u32 s7, 0, s8
	s_subb_u32 s23, 0, s9
	v_mac_f32_e32 v1, 0x4f800000, v6
	v_rcp_f32_e32 v1, v1
	v_mul_f32_e32 v1, 0x5f7ffffc, v1
	v_mul_f32_e32 v6, 0x2f800000, v1
	v_trunc_f32_e32 v6, v6
	v_mac_f32_e32 v1, 0xcf800000, v6
	v_cvt_u32_f32_e32 v6, v6
	v_cvt_u32_f32_e32 v1, v1
	v_readfirstlane_b32 s30, v6
	v_readfirstlane_b32 s2, v1
	s_mul_i32 s3, s7, s30
	s_mul_hi_u32 s34, s7, s2
	s_mul_i32 s31, s23, s2
	s_add_i32 s3, s34, s3
	s_add_i32 s3, s3, s31
	s_mul_i32 s35, s7, s2
	s_mul_i32 s34, s2, s3
	s_mul_hi_u32 s36, s2, s35
	s_mul_hi_u32 s31, s2, s3
	s_add_u32 s34, s36, s34
	s_addc_u32 s31, 0, s31
	s_mul_hi_u32 s37, s30, s35
	s_mul_i32 s35, s30, s35
	s_add_u32 s34, s34, s35
	s_mul_hi_u32 s36, s30, s3
	s_addc_u32 s31, s31, s37
	s_addc_u32 s34, s36, 0
	s_mul_i32 s3, s30, s3
	s_add_u32 s3, s31, s3
	s_addc_u32 s31, 0, s34
	s_add_u32 s34, s2, s3
	s_cselect_b64 s[2:3], -1, 0
	s_cmp_lg_u64 s[2:3], 0
	s_addc_u32 s30, s30, s31
	s_mul_i32 s2, s7, s30
	s_mul_hi_u32 s3, s7, s34
	s_add_i32 s2, s3, s2
	s_mul_i32 s23, s23, s34
	s_add_i32 s2, s2, s23
	s_mul_i32 s7, s7, s34
	s_mul_hi_u32 s23, s30, s7
	s_mul_i32 s31, s30, s7
	s_mul_i32 s36, s34, s2
	s_mul_hi_u32 s7, s34, s7
	s_mul_hi_u32 s35, s34, s2
	s_add_u32 s7, s7, s36
	s_addc_u32 s35, 0, s35
	s_add_u32 s7, s7, s31
	s_mul_hi_u32 s3, s30, s2
	s_addc_u32 s7, s35, s23
	s_addc_u32 s3, s3, 0
	s_mul_i32 s2, s30, s2
	s_add_u32 s2, s7, s2
	s_addc_u32 s7, 0, s3
	s_add_u32 s23, s34, s2
	s_cselect_b64 s[2:3], -1, 0
	v_ashrrev_i32_e32 v1, 31, v4
	s_cmp_lg_u64 s[2:3], 0
	v_add_co_u32_e32 v3, vcc, v3, v1
	s_addc_u32 s7, s30, s7
	v_xor_b32_e32 v9, v3, v1
	v_addc_co_u32_e32 v6, vcc, v4, v1, vcc
	v_mad_u64_u32 v[3:4], s[2:3], v9, s7, 0
	v_mul_hi_u32 v7, v9, s23
	v_xor_b32_e32 v10, v6, v1
	v_xor_b32_e32 v1, s6, v1
	v_add_co_u32_e32 v11, vcc, v7, v3
	v_addc_co_u32_e32 v12, vcc, 0, v4, vcc
	v_mad_u64_u32 v[3:4], s[2:3], v10, s23, 0
	v_mad_u64_u32 v[6:7], s[2:3], v10, s7, 0
	v_add_co_u32_e32 v3, vcc, v11, v3
	v_addc_co_u32_e32 v3, vcc, v12, v4, vcc
	v_addc_co_u32_e32 v4, vcc, 0, v7, vcc
	v_add_co_u32_e32 v6, vcc, v3, v6
	v_addc_co_u32_e32 v7, vcc, 0, v4, vcc
	v_mul_lo_u32 v11, s9, v6
	v_mul_lo_u32 v12, s8, v7
	v_mad_u64_u32 v[3:4], s[2:3], s8, v6, 0
	v_add3_u32 v4, v4, v12, v11
	v_sub_u32_e32 v11, v10, v4
	v_mov_b32_e32 v12, s9
	v_sub_co_u32_e32 v3, vcc, v9, v3
	v_subb_co_u32_e64 v9, s[2:3], v11, v12, vcc
	v_subrev_co_u32_e64 v11, s[2:3], s8, v3
	v_subbrev_co_u32_e64 v9, s[2:3], 0, v9, s[2:3]
	v_cmp_le_u32_e64 s[2:3], s9, v9
	v_cndmask_b32_e64 v12, 0, -1, s[2:3]
	v_cmp_le_u32_e64 s[2:3], s8, v11
	v_cndmask_b32_e64 v11, 0, -1, s[2:3]
	v_cmp_eq_u32_e64 s[2:3], s9, v9
	v_cndmask_b32_e64 v9, v12, v11, s[2:3]
	v_add_co_u32_e64 v11, s[2:3], 2, v6
	v_subb_co_u32_e32 v4, vcc, v10, v4, vcc
	v_addc_co_u32_e64 v12, s[2:3], 0, v7, s[2:3]
	v_cmp_le_u32_e32 vcc, s9, v4
	v_add_co_u32_e64 v13, s[2:3], 1, v6
	v_cndmask_b32_e64 v10, 0, -1, vcc
	v_cmp_le_u32_e32 vcc, s8, v3
	v_addc_co_u32_e64 v14, s[2:3], 0, v7, s[2:3]
	v_cndmask_b32_e64 v3, 0, -1, vcc
	v_cmp_eq_u32_e32 vcc, s9, v4
	v_cmp_ne_u32_e64 s[2:3], 0, v9
	v_cndmask_b32_e32 v3, v10, v3, vcc
	v_cmp_ne_u32_e32 vcc, 0, v3
	v_cndmask_b32_e64 v4, v13, v11, s[2:3]
	v_cndmask_b32_e64 v9, v14, v12, s[2:3]
	v_cndmask_b32_e32 v4, v6, v4, vcc
	v_cndmask_b32_e32 v3, v7, v9, vcc
	v_xor_b32_e32 v4, v4, v1
	v_xor_b32_e32 v3, v3, v1
	v_sub_co_u32_e32 v6, vcc, v4, v1
	v_subb_co_u32_e32 v7, vcc, v3, v1, vcc
                                        ; implicit-def: $vgpr3_vgpr4
.LBB2_18:                               ;   in Loop: Header=BB2_12 Depth=1
	s_andn2_saveexec_b64 s[2:3], s[4:5]
	s_cbranch_execz .LBB2_20
; %bb.19:                               ;   in Loop: Header=BB2_12 Depth=1
	s_sub_i32 s4, 0, s33
	v_mul_lo_u32 v1, s4, v17
	v_mul_hi_u32 v1, v17, v1
	v_add_u32_e32 v1, v17, v1
	v_mul_hi_u32 v1, v3, v1
	v_mul_lo_u32 v4, v1, s33
	v_add_u32_e32 v6, 1, v1
	v_sub_u32_e32 v3, v3, v4
	v_subrev_u32_e32 v4, s33, v3
	v_cmp_le_u32_e32 vcc, s33, v3
	v_cndmask_b32_e32 v3, v3, v4, vcc
	v_cndmask_b32_e32 v1, v1, v6, vcc
	v_add_u32_e32 v4, 1, v1
	v_cmp_le_u32_e32 vcc, s33, v3
	v_cndmask_b32_e32 v1, v1, v4, vcc
	v_mov_b32_e32 v7, v2
	v_mov_b32_e32 v6, v1
.LBB2_20:                               ;   in Loop: Header=BB2_12 Depth=1
	s_or_b64 exec, exec, s[2:3]
	v_add_co_u32_e32 v1, vcc, 1, v16
	v_addc_co_u32_e32 v3, vcc, 0, v8, vcc
	v_mul_lo_u32 v8, v1, s52
	v_mul_lo_u32 v9, v3, s53
	v_mad_u64_u32 v[3:4], s[2:3], v1, s53, -1
	v_add3_u32 v4, v9, v4, v8
	v_or_b32_e32 v9, s19, v4
	v_mov_b32_e32 v8, v2
	v_cmp_ne_u64_e32 vcc, 0, v[8:9]
                                        ; implicit-def: $vgpr8_vgpr9
	s_and_saveexec_b64 s[2:3], vcc
	s_xor_b64 s[4:5], exec, s[2:3]
	s_cbranch_execnz .LBB2_23
; %bb.21:                               ;   in Loop: Header=BB2_12 Depth=1
	s_andn2_saveexec_b64 s[2:3], s[4:5]
	s_cbranch_execnz .LBB2_24
.LBB2_22:                               ;   in Loop: Header=BB2_12 Depth=1
	s_or_b64 exec, exec, s[2:3]
	s_and_saveexec_b64 s[30:31], s[0:1]
	s_cbranch_execz .LBB2_11
	s_branch .LBB2_25
.LBB2_23:                               ;   in Loop: Header=BB2_12 Depth=1
	s_ashr_i32 s6, s19, 31
	s_add_u32 s2, s33, s6
	s_mov_b32 s7, s6
	s_addc_u32 s3, s19, s6
	s_xor_b64 s[8:9], s[2:3], s[6:7]
	v_cvt_f32_u32_e32 v1, s8
	v_cvt_f32_u32_e32 v8, s9
	s_sub_u32 s7, 0, s8
	s_subb_u32 s23, 0, s9
	v_mac_f32_e32 v1, 0x4f800000, v8
	v_rcp_f32_e32 v1, v1
	v_mul_f32_e32 v1, 0x5f7ffffc, v1
	v_mul_f32_e32 v8, 0x2f800000, v1
	v_trunc_f32_e32 v8, v8
	v_mac_f32_e32 v1, 0xcf800000, v8
	v_cvt_u32_f32_e32 v8, v8
	v_cvt_u32_f32_e32 v1, v1
	v_readfirstlane_b32 s30, v8
	v_readfirstlane_b32 s2, v1
	s_mul_i32 s3, s7, s30
	s_mul_hi_u32 s34, s7, s2
	s_mul_i32 s31, s23, s2
	s_add_i32 s3, s34, s3
	s_add_i32 s3, s3, s31
	s_mul_i32 s35, s7, s2
	s_mul_i32 s34, s2, s3
	s_mul_hi_u32 s36, s2, s35
	s_mul_hi_u32 s31, s2, s3
	s_add_u32 s34, s36, s34
	s_addc_u32 s31, 0, s31
	s_mul_hi_u32 s37, s30, s35
	s_mul_i32 s35, s30, s35
	s_add_u32 s34, s34, s35
	s_mul_hi_u32 s36, s30, s3
	s_addc_u32 s31, s31, s37
	s_addc_u32 s34, s36, 0
	s_mul_i32 s3, s30, s3
	s_add_u32 s3, s31, s3
	s_addc_u32 s31, 0, s34
	s_add_u32 s34, s2, s3
	s_cselect_b64 s[2:3], -1, 0
	s_cmp_lg_u64 s[2:3], 0
	s_addc_u32 s30, s30, s31
	s_mul_i32 s2, s7, s30
	s_mul_hi_u32 s3, s7, s34
	s_add_i32 s2, s3, s2
	s_mul_i32 s23, s23, s34
	s_add_i32 s2, s2, s23
	s_mul_i32 s7, s7, s34
	s_mul_hi_u32 s23, s30, s7
	s_mul_i32 s31, s30, s7
	s_mul_i32 s36, s34, s2
	s_mul_hi_u32 s7, s34, s7
	s_mul_hi_u32 s35, s34, s2
	s_add_u32 s7, s7, s36
	s_addc_u32 s35, 0, s35
	s_add_u32 s7, s7, s31
	s_mul_hi_u32 s3, s30, s2
	s_addc_u32 s7, s35, s23
	s_addc_u32 s3, s3, 0
	s_mul_i32 s2, s30, s2
	s_add_u32 s2, s7, s2
	s_addc_u32 s7, 0, s3
	s_add_u32 s23, s34, s2
	s_cselect_b64 s[2:3], -1, 0
	v_ashrrev_i32_e32 v1, 31, v4
	s_cmp_lg_u64 s[2:3], 0
	v_add_co_u32_e32 v3, vcc, v3, v1
	s_addc_u32 s7, s30, s7
	v_xor_b32_e32 v10, v3, v1
	v_addc_co_u32_e32 v8, vcc, v4, v1, vcc
	v_mad_u64_u32 v[3:4], s[2:3], v10, s7, 0
	v_mul_hi_u32 v9, v10, s23
	v_xor_b32_e32 v11, v8, v1
	v_xor_b32_e32 v1, s6, v1
	v_add_co_u32_e32 v12, vcc, v9, v3
	v_addc_co_u32_e32 v13, vcc, 0, v4, vcc
	v_mad_u64_u32 v[3:4], s[2:3], v11, s23, 0
	v_mad_u64_u32 v[8:9], s[2:3], v11, s7, 0
	v_add_co_u32_e32 v3, vcc, v12, v3
	v_addc_co_u32_e32 v3, vcc, v13, v4, vcc
	v_addc_co_u32_e32 v4, vcc, 0, v9, vcc
	v_add_co_u32_e32 v8, vcc, v3, v8
	v_addc_co_u32_e32 v3, vcc, 0, v4, vcc
	v_mul_lo_u32 v9, s9, v8
	v_mul_lo_u32 v12, s8, v3
	v_mad_u64_u32 v[3:4], s[2:3], s8, v8, 0
	v_add3_u32 v4, v4, v12, v9
	v_sub_u32_e32 v9, v11, v4
	v_mov_b32_e32 v12, s9
	v_sub_co_u32_e32 v3, vcc, v10, v3
	v_subb_co_u32_e64 v9, s[2:3], v9, v12, vcc
	v_subrev_co_u32_e64 v10, s[2:3], s8, v3
	v_subbrev_co_u32_e64 v9, s[2:3], 0, v9, s[2:3]
	v_cmp_le_u32_e64 s[2:3], s9, v9
	v_subb_co_u32_e32 v4, vcc, v11, v4, vcc
	v_cndmask_b32_e64 v12, 0, -1, s[2:3]
	v_cmp_le_u32_e64 s[2:3], s8, v10
	v_cmp_le_u32_e32 vcc, s9, v4
	v_cndmask_b32_e64 v10, 0, -1, s[2:3]
	v_cmp_eq_u32_e64 s[2:3], s9, v9
	v_cndmask_b32_e64 v11, 0, -1, vcc
	v_cmp_le_u32_e32 vcc, s8, v3
	v_cndmask_b32_e64 v9, v12, v10, s[2:3]
	v_cndmask_b32_e64 v3, 0, -1, vcc
	v_cmp_eq_u32_e32 vcc, s9, v4
	v_add_co_u32_e64 v10, s[2:3], 2, v8
	v_add_co_u32_e64 v12, s[2:3], 1, v8
	v_cndmask_b32_e32 v3, v11, v3, vcc
	v_cmp_ne_u32_e32 vcc, 0, v9
	v_cndmask_b32_e32 v4, v12, v10, vcc
	v_cmp_ne_u32_e32 vcc, 0, v3
	v_cndmask_b32_e32 v3, v8, v4, vcc
	v_xor_b32_e32 v3, v3, v1
	v_sub_co_u32_e32 v8, vcc, v3, v1
                                        ; implicit-def: $vgpr3_vgpr4
	s_andn2_saveexec_b64 s[2:3], s[4:5]
	s_cbranch_execz .LBB2_22
.LBB2_24:                               ;   in Loop: Header=BB2_12 Depth=1
	s_sub_i32 s4, 0, s33
	v_mul_lo_u32 v1, s4, v17
	v_mul_hi_u32 v1, v17, v1
	v_add_u32_e32 v1, v17, v1
	v_mul_hi_u32 v1, v3, v1
	v_mul_lo_u32 v4, v1, s33
	v_add_u32_e32 v8, 1, v1
	v_sub_u32_e32 v3, v3, v4
	v_subrev_u32_e32 v4, s33, v3
	v_cmp_le_u32_e32 vcc, s33, v3
	v_cndmask_b32_e32 v3, v3, v4, vcc
	v_cndmask_b32_e32 v1, v1, v8, vcc
	v_add_u32_e32 v4, 1, v1
	v_cmp_le_u32_e32 vcc, s33, v3
	v_cndmask_b32_e32 v8, v1, v4, vcc
	s_or_b64 exec, exec, s[2:3]
	s_and_saveexec_b64 s[30:31], s[0:1]
	s_cbranch_execz .LBB2_11
.LBB2_25:                               ;   in Loop: Header=BB2_12 Depth=1
	v_mad_u64_u32 v[3:4], s[2:3], v5, s53, v[6:7]
	v_mul_lo_u32 v7, v16, s25
	v_add_u32_e32 v5, s56, v5
	v_sub_u32_e32 v1, v8, v3
	v_add_u32_e32 v18, 1, v1
	v_ashrrev_i32_e32 v8, 31, v7
	v_lshlrev_b64 v[9:10], 1, v[7:8]
	v_mov_b32_e32 v1, s47
	v_add_co_u32_e32 v19, vcc, s46, v9
	v_lshlrev_b64 v[7:8], 3, v[7:8]
	v_addc_co_u32_e32 v20, vcc, v1, v10, vcc
	v_mov_b32_e32 v1, s49
	v_add_co_u32_e32 v21, vcc, s48, v7
	v_addc_co_u32_e32 v22, vcc, v1, v8, vcc
	v_mov_b32_e32 v7, s20
	v_ashrrev_i32_e32 v4, 31, v3
	v_add_u32_e32 v1, s55, v3
	v_mov_b32_e32 v8, s21
	v_mul_lo_u32 v23, v1, s18
	v_mul_lo_u32 v1, s12, v4
	;; [unrolled: 1-line block ×3, first 2 shown]
	v_mad_u64_u32 v[3:4], s[4:5], s12, v3, v[7:8]
	v_mad_u64_u32 v[5:6], s[4:5], s17, v5, v[6:7]
	v_cmp_lt_i32_e64 s[2:3], 0, v18
	v_add3_u32 v4, v9, v4, v1
	s_mov_b64 s[34:35], 0
	v_mov_b32_e32 v1, v0
	s_branch .LBB2_28
.LBB2_26:                               ;   in Loop: Header=BB2_28 Depth=2
	v_mov_b32_e32 v7, 0xfffffc00
.LBB2_27:                               ;   in Loop: Header=BB2_28 Depth=2
	v_lshlrev_b64 v[10:11], 1, v[1:2]
	v_lshlrev_b64 v[12:13], 3, v[1:2]
	v_add_co_u32_e32 v10, vcc, v19, v10
	v_addc_co_u32_e32 v11, vcc, v20, v11, vcc
	v_add_co_u32_e32 v12, vcc, v21, v12
	v_addc_co_u32_e32 v13, vcc, v22, v13, vcc
	v_add_u32_e32 v1, s51, v1
	v_cmp_le_i32_e32 vcc, s25, v1
	s_or_b64 s[34:35], vcc, s[34:35]
	global_store_short v[10:11], v7, off
	global_store_dwordx2 v[12:13], v[8:9], off
	s_andn2_b64 exec, exec, s[34:35]
	s_cbranch_execz .LBB2_11
.LBB2_28:                               ;   Parent Loop BB2_12 Depth=1
                                        ; =>  This Loop Header: Depth=2
                                        ;       Child Loop BB2_44 Depth 3
                                        ;         Child Loop BB2_47 Depth 4
                                        ;           Child Loop BB2_49 Depth 5
	s_mov_b32 s23, s44
	s_cmp_lg_u64 s[22:23], 0
	s_cselect_b64 s[4:5], -1, 0
                                        ; implicit-def: $vgpr6_vgpr7
	s_and_saveexec_b64 s[6:7], s[4:5]
	s_xor_b64 s[6:7], exec, s[6:7]
	s_cbranch_execz .LBB2_30
; %bb.29:                               ;   in Loop: Header=BB2_28 Depth=2
	s_ashr_i32 s8, s44, 31
	s_add_u32 s4, s45, s8
	s_mov_b32 s9, s8
	s_addc_u32 s5, s44, s8
	s_xor_b64 s[36:37], s[4:5], s[8:9]
	v_cvt_f32_u32_e32 v6, s36
	v_cvt_f32_u32_e32 v7, s37
	s_sub_u32 s9, 0, s36
	s_subb_u32 s23, 0, s37
	v_add_co_u32_e32 v10, vcc, 0, v1
	v_mac_f32_e32 v6, 0x4f800000, v7
	v_rcp_f32_e32 v6, v6
	v_mul_f32_e32 v6, 0x5f7ffffc, v6
	v_mul_f32_e32 v7, 0x2f800000, v6
	v_trunc_f32_e32 v7, v7
	v_mac_f32_e32 v6, 0xcf800000, v7
	v_cvt_u32_f32_e32 v7, v7
	v_cvt_u32_f32_e32 v6, v6
	v_readfirstlane_b32 s38, v7
	v_readfirstlane_b32 s4, v6
	s_mul_i32 s5, s9, s38
	s_mul_hi_u32 s40, s9, s4
	s_mul_i32 s39, s23, s4
	s_add_i32 s5, s40, s5
	s_add_i32 s5, s5, s39
	s_mul_i32 s41, s9, s4
	s_mul_i32 s40, s4, s5
	s_mul_hi_u32 s42, s4, s41
	s_mul_hi_u32 s39, s4, s5
	s_add_u32 s40, s42, s40
	s_addc_u32 s39, 0, s39
	s_mul_hi_u32 s43, s38, s41
	s_mul_i32 s41, s38, s41
	s_add_u32 s40, s40, s41
	s_mul_hi_u32 s42, s38, s5
	s_addc_u32 s39, s39, s43
	s_addc_u32 s40, s42, 0
	s_mul_i32 s5, s38, s5
	s_add_u32 s5, s39, s5
	s_addc_u32 s39, 0, s40
	s_add_u32 s40, s4, s5
	s_cselect_b64 s[4:5], -1, 0
	s_cmp_lg_u64 s[4:5], 0
	s_addc_u32 s38, s38, s39
	s_mul_i32 s4, s9, s38
	s_mul_hi_u32 s5, s9, s40
	s_add_i32 s4, s5, s4
	s_mul_i32 s23, s23, s40
	s_add_i32 s4, s4, s23
	s_mul_i32 s9, s9, s40
	s_mul_hi_u32 s23, s38, s9
	s_mul_i32 s39, s38, s9
	s_mul_i32 s42, s40, s4
	s_mul_hi_u32 s9, s40, s9
	s_mul_hi_u32 s41, s40, s4
	s_add_u32 s9, s9, s42
	s_addc_u32 s41, 0, s41
	s_add_u32 s9, s9, s39
	s_mul_hi_u32 s5, s38, s4
	s_addc_u32 s9, s41, s23
	s_addc_u32 s5, s5, 0
	s_mul_i32 s4, s38, s4
	s_add_u32 s4, s9, s4
	s_addc_u32 s9, 0, s5
	s_add_u32 s23, s40, s4
	s_cselect_b64 s[4:5], -1, 0
	s_cmp_lg_u64 s[4:5], 0
	s_addc_u32 s9, s38, s9
	v_mad_u64_u32 v[6:7], s[4:5], v10, s9, 0
	v_mul_hi_u32 v8, v10, s23
	v_addc_co_u32_e64 v11, s[4:5], 0, 0, vcc
	v_add_co_u32_e32 v12, vcc, v8, v6
	v_addc_co_u32_e32 v13, vcc, 0, v7, vcc
	v_mad_u64_u32 v[6:7], s[4:5], v11, s23, 0
	v_mad_u64_u32 v[8:9], s[4:5], v11, s9, 0
	v_add_co_u32_e32 v6, vcc, v12, v6
	v_addc_co_u32_e32 v6, vcc, v13, v7, vcc
	v_addc_co_u32_e32 v7, vcc, 0, v9, vcc
	v_add_co_u32_e32 v8, vcc, v6, v8
	v_addc_co_u32_e32 v9, vcc, 0, v7, vcc
	v_mul_lo_u32 v12, s37, v8
	v_mul_lo_u32 v13, s36, v9
	v_mad_u64_u32 v[6:7], s[4:5], s36, v8, 0
	v_add3_u32 v7, v7, v13, v12
	v_sub_u32_e32 v12, v11, v7
	v_mov_b32_e32 v13, s37
	v_sub_co_u32_e32 v6, vcc, v10, v6
	v_subb_co_u32_e64 v10, s[4:5], v12, v13, vcc
	v_subrev_co_u32_e64 v12, s[4:5], s36, v6
	v_subbrev_co_u32_e64 v10, s[4:5], 0, v10, s[4:5]
	v_cmp_le_u32_e64 s[4:5], s37, v10
	v_cndmask_b32_e64 v13, 0, -1, s[4:5]
	v_cmp_le_u32_e64 s[4:5], s36, v12
	v_cndmask_b32_e64 v12, 0, -1, s[4:5]
	v_cmp_eq_u32_e64 s[4:5], s37, v10
	v_cndmask_b32_e64 v10, v13, v12, s[4:5]
	v_add_co_u32_e64 v12, s[4:5], 2, v8
	v_subb_co_u32_e32 v7, vcc, v11, v7, vcc
	v_addc_co_u32_e64 v13, s[4:5], 0, v9, s[4:5]
	v_cmp_le_u32_e32 vcc, s37, v7
	v_add_co_u32_e64 v14, s[4:5], 1, v8
	v_cndmask_b32_e64 v11, 0, -1, vcc
	v_cmp_le_u32_e32 vcc, s36, v6
	v_addc_co_u32_e64 v15, s[4:5], 0, v9, s[4:5]
	v_cndmask_b32_e64 v6, 0, -1, vcc
	v_cmp_eq_u32_e32 vcc, s37, v7
	v_cmp_ne_u32_e64 s[4:5], 0, v10
	v_cndmask_b32_e32 v6, v11, v6, vcc
	v_cndmask_b32_e64 v10, v15, v13, s[4:5]
	v_cmp_ne_u32_e32 vcc, 0, v6
	v_cndmask_b32_e64 v7, v14, v12, s[4:5]
	v_cndmask_b32_e32 v6, v9, v10, vcc
	v_cndmask_b32_e32 v7, v8, v7, vcc
	v_xor_b32_e32 v8, s8, v6
	v_xor_b32_e32 v6, s8, v7
	v_mov_b32_e32 v7, s8
	v_subrev_co_u32_e32 v6, vcc, s8, v6
	v_subb_co_u32_e32 v7, vcc, v8, v7, vcc
.LBB2_30:                               ;   in Loop: Header=BB2_28 Depth=2
	s_andn2_saveexec_b64 s[4:5], s[6:7]
	s_cbranch_execz .LBB2_32
; %bb.31:                               ;   in Loop: Header=BB2_28 Depth=2
	v_cvt_f32_u32_e32 v6, s45
	s_sub_i32 s6, 0, s45
	v_rcp_iflag_f32_e32 v6, v6
	v_mul_f32_e32 v6, 0x4f7ffffe, v6
	v_cvt_u32_f32_e32 v6, v6
	v_mul_lo_u32 v7, s6, v6
	v_mul_hi_u32 v7, v6, v7
	v_add_u32_e32 v6, v6, v7
	v_mul_hi_u32 v6, v1, v6
	v_mul_lo_u32 v7, v6, s45
	v_add_u32_e32 v8, 1, v6
	v_sub_u32_e32 v7, v1, v7
	v_subrev_u32_e32 v9, s45, v7
	v_cmp_le_u32_e32 vcc, s45, v7
	v_cndmask_b32_e32 v7, v7, v9, vcc
	v_cndmask_b32_e32 v6, v6, v8, vcc
	v_add_u32_e32 v8, 1, v6
	v_cmp_le_u32_e32 vcc, s45, v7
	v_cndmask_b32_e32 v6, v6, v8, vcc
	v_mov_b32_e32 v7, v2
.LBB2_32:                               ;   in Loop: Header=BB2_28 Depth=2
	s_or_b64 exec, exec, s[4:5]
	v_mul_lo_u32 v9, v7, s45
	v_mul_lo_u32 v10, v6, s44
	v_mad_u64_u32 v[7:8], s[4:5], v6, s45, 0
	v_add3_u32 v8, v8, v10, v9
	v_sub_co_u32_e32 v7, vcc, v1, v7
	v_subb_co_u32_e32 v8, vcc, 0, v8, vcc
	v_mul_lo_u32 v8, v8, s18
	v_mul_lo_u32 v11, v7, s54
	v_mad_u64_u32 v[9:10], s[4:5], v7, s18, 0
	v_mov_b32_e32 v7, v2
	v_add3_u32 v10, v10, v11, v8
	v_or_b32_e32 v8, s44, v10
	v_cmp_ne_u64_e32 vcc, 0, v[7:8]
                                        ; implicit-def: $vgpr7_vgpr8
	s_and_saveexec_b64 s[4:5], vcc
	s_xor_b64 s[6:7], exec, s[4:5]
	s_cbranch_execz .LBB2_34
; %bb.33:                               ;   in Loop: Header=BB2_28 Depth=2
	s_ashr_i32 s8, s44, 31
	s_add_u32 s4, s45, s8
	s_mov_b32 s9, s8
	s_addc_u32 s5, s44, s8
	s_xor_b64 s[36:37], s[4:5], s[8:9]
	v_cvt_f32_u32_e32 v7, s36
	v_cvt_f32_u32_e32 v8, s37
	s_sub_u32 s9, 0, s36
	s_subb_u32 s23, 0, s37
	v_ashrrev_i32_e32 v11, 31, v10
	v_mac_f32_e32 v7, 0x4f800000, v8
	v_rcp_f32_e32 v7, v7
	v_mul_f32_e32 v7, 0x5f7ffffc, v7
	v_mul_f32_e32 v8, 0x2f800000, v7
	v_trunc_f32_e32 v8, v8
	v_mac_f32_e32 v7, 0xcf800000, v8
	v_cvt_u32_f32_e32 v8, v8
	v_cvt_u32_f32_e32 v7, v7
	v_readfirstlane_b32 s38, v8
	v_readfirstlane_b32 s4, v7
	s_mul_i32 s5, s9, s38
	s_mul_hi_u32 s40, s9, s4
	s_mul_i32 s39, s23, s4
	s_add_i32 s5, s40, s5
	s_add_i32 s5, s5, s39
	s_mul_i32 s41, s9, s4
	s_mul_i32 s40, s4, s5
	s_mul_hi_u32 s42, s4, s41
	s_mul_hi_u32 s39, s4, s5
	s_add_u32 s40, s42, s40
	s_addc_u32 s39, 0, s39
	s_mul_hi_u32 s43, s38, s41
	s_mul_i32 s41, s38, s41
	s_add_u32 s40, s40, s41
	s_mul_hi_u32 s42, s38, s5
	s_addc_u32 s39, s39, s43
	s_addc_u32 s40, s42, 0
	s_mul_i32 s5, s38, s5
	s_add_u32 s5, s39, s5
	s_addc_u32 s39, 0, s40
	s_add_u32 s40, s4, s5
	s_cselect_b64 s[4:5], -1, 0
	s_cmp_lg_u64 s[4:5], 0
	s_addc_u32 s38, s38, s39
	s_mul_i32 s4, s9, s38
	s_mul_hi_u32 s5, s9, s40
	s_add_i32 s4, s5, s4
	s_mul_i32 s23, s23, s40
	s_add_i32 s4, s4, s23
	s_mul_i32 s9, s9, s40
	s_mul_hi_u32 s23, s38, s9
	s_mul_i32 s39, s38, s9
	s_mul_i32 s42, s40, s4
	s_mul_hi_u32 s9, s40, s9
	s_mul_hi_u32 s41, s40, s4
	s_add_u32 s9, s9, s42
	s_addc_u32 s41, 0, s41
	s_add_u32 s9, s9, s39
	s_mul_hi_u32 s5, s38, s4
	s_addc_u32 s9, s41, s23
	s_addc_u32 s5, s5, 0
	s_mul_i32 s4, s38, s4
	s_add_u32 s4, s9, s4
	s_addc_u32 s9, 0, s5
	s_add_u32 s23, s40, s4
	s_cselect_b64 s[4:5], -1, 0
	s_cmp_lg_u64 s[4:5], 0
	v_add_co_u32_e32 v7, vcc, v9, v11
	s_addc_u32 s9, s38, s9
	v_xor_b32_e32 v12, v7, v11
	v_addc_co_u32_e32 v9, vcc, v10, v11, vcc
	v_mad_u64_u32 v[7:8], s[4:5], v12, s9, 0
	v_mul_hi_u32 v10, v12, s23
	v_xor_b32_e32 v13, v9, v11
	v_add_co_u32_e32 v14, vcc, v10, v7
	v_addc_co_u32_e32 v15, vcc, 0, v8, vcc
	v_mad_u64_u32 v[7:8], s[4:5], v13, s23, 0
	v_mad_u64_u32 v[9:10], s[4:5], v13, s9, 0
	v_add_co_u32_e32 v7, vcc, v14, v7
	v_addc_co_u32_e32 v7, vcc, v15, v8, vcc
	v_addc_co_u32_e32 v8, vcc, 0, v10, vcc
	v_add_co_u32_e32 v9, vcc, v7, v9
	v_addc_co_u32_e32 v10, vcc, 0, v8, vcc
	v_mul_lo_u32 v14, s37, v9
	v_mul_lo_u32 v15, s36, v10
	v_mad_u64_u32 v[7:8], s[4:5], s36, v9, 0
	v_add3_u32 v8, v8, v15, v14
	v_sub_u32_e32 v14, v13, v8
	v_mov_b32_e32 v15, s37
	v_sub_co_u32_e32 v7, vcc, v12, v7
	v_subb_co_u32_e64 v12, s[4:5], v14, v15, vcc
	v_subrev_co_u32_e64 v14, s[4:5], s36, v7
	v_subbrev_co_u32_e64 v12, s[4:5], 0, v12, s[4:5]
	v_cmp_le_u32_e64 s[4:5], s37, v12
	v_cndmask_b32_e64 v15, 0, -1, s[4:5]
	v_cmp_le_u32_e64 s[4:5], s36, v14
	v_cndmask_b32_e64 v14, 0, -1, s[4:5]
	v_cmp_eq_u32_e64 s[4:5], s37, v12
	v_cndmask_b32_e64 v12, v15, v14, s[4:5]
	v_add_co_u32_e64 v14, s[4:5], 2, v9
	v_subb_co_u32_e32 v8, vcc, v13, v8, vcc
	v_addc_co_u32_e64 v15, s[4:5], 0, v10, s[4:5]
	v_cmp_le_u32_e32 vcc, s37, v8
	v_add_co_u32_e64 v24, s[4:5], 1, v9
	v_cndmask_b32_e64 v13, 0, -1, vcc
	v_cmp_le_u32_e32 vcc, s36, v7
	v_addc_co_u32_e64 v25, s[4:5], 0, v10, s[4:5]
	v_cndmask_b32_e64 v7, 0, -1, vcc
	v_cmp_eq_u32_e32 vcc, s37, v8
	v_cmp_ne_u32_e64 s[4:5], 0, v12
	v_cndmask_b32_e32 v7, v13, v7, vcc
	v_cndmask_b32_e64 v12, v25, v15, s[4:5]
	v_cmp_ne_u32_e32 vcc, 0, v7
	v_cndmask_b32_e64 v8, v24, v14, s[4:5]
	v_cndmask_b32_e32 v7, v10, v12, vcc
	v_cndmask_b32_e32 v8, v9, v8, vcc
	v_xor_b32_e32 v9, s8, v11
	v_xor_b32_e32 v10, v7, v9
	;; [unrolled: 1-line block ×3, first 2 shown]
	v_sub_co_u32_e32 v7, vcc, v7, v9
	v_subb_co_u32_e32 v8, vcc, v10, v9, vcc
                                        ; implicit-def: $vgpr9_vgpr10
.LBB2_34:                               ;   in Loop: Header=BB2_28 Depth=2
	s_andn2_saveexec_b64 s[4:5], s[6:7]
	s_cbranch_execz .LBB2_36
; %bb.35:                               ;   in Loop: Header=BB2_28 Depth=2
	v_cvt_f32_u32_e32 v7, s45
	s_sub_i32 s6, 0, s45
	v_rcp_iflag_f32_e32 v7, v7
	v_mul_f32_e32 v7, 0x4f7ffffe, v7
	v_cvt_u32_f32_e32 v7, v7
	v_mul_lo_u32 v8, s6, v7
	v_mul_hi_u32 v8, v7, v8
	v_add_u32_e32 v7, v7, v8
	v_mul_hi_u32 v7, v9, v7
	v_mul_lo_u32 v8, v7, s45
	v_add_u32_e32 v10, 1, v7
	v_sub_u32_e32 v8, v9, v8
	v_subrev_u32_e32 v9, s45, v8
	v_cmp_le_u32_e32 vcc, s45, v8
	v_cndmask_b32_e32 v8, v8, v9, vcc
	v_cndmask_b32_e32 v7, v7, v10, vcc
	v_add_u32_e32 v9, 1, v7
	v_cmp_le_u32_e32 vcc, s45, v8
	v_cndmask_b32_e32 v7, v7, v9, vcc
	v_mov_b32_e32 v8, v2
.LBB2_36:                               ;   in Loop: Header=BB2_28 Depth=2
	s_or_b64 exec, exec, s[4:5]
	v_add_u32_e32 v11, 1, v1
	v_mad_u64_u32 v[9:10], s[4:5], v11, s18, -1
	v_mad_u64_u32 v[10:11], s[4:5], v11, s54, v[10:11]
	v_mov_b32_e32 v11, v2
	v_or_b32_e32 v12, s44, v10
	v_cmp_ne_u64_e32 vcc, 0, v[11:12]
                                        ; implicit-def: $vgpr11_vgpr12
	s_and_saveexec_b64 s[4:5], vcc
	s_xor_b64 s[6:7], exec, s[4:5]
	s_cbranch_execz .LBB2_38
; %bb.37:                               ;   in Loop: Header=BB2_28 Depth=2
	s_ashr_i32 s8, s44, 31
	s_add_u32 s4, s45, s8
	s_mov_b32 s9, s8
	s_addc_u32 s5, s44, s8
	s_xor_b64 s[36:37], s[4:5], s[8:9]
	v_cvt_f32_u32_e32 v11, s36
	v_cvt_f32_u32_e32 v12, s37
	s_sub_u32 s9, 0, s36
	s_subb_u32 s23, 0, s37
	v_ashrrev_i32_e32 v13, 31, v10
	v_mac_f32_e32 v11, 0x4f800000, v12
	v_rcp_f32_e32 v11, v11
	v_add_co_u32_e32 v9, vcc, v9, v13
	v_xor_b32_e32 v14, v9, v13
	v_mul_f32_e32 v11, 0x5f7ffffc, v11
	v_mul_f32_e32 v12, 0x2f800000, v11
	v_trunc_f32_e32 v12, v12
	v_mac_f32_e32 v11, 0xcf800000, v12
	v_cvt_u32_f32_e32 v12, v12
	v_cvt_u32_f32_e32 v11, v11
	v_readfirstlane_b32 s38, v12
	v_readfirstlane_b32 s4, v11
	s_mul_i32 s5, s9, s38
	s_mul_hi_u32 s40, s9, s4
	s_mul_i32 s39, s23, s4
	s_add_i32 s5, s40, s5
	s_add_i32 s5, s5, s39
	s_mul_i32 s41, s9, s4
	s_mul_i32 s40, s4, s5
	s_mul_hi_u32 s42, s4, s41
	s_mul_hi_u32 s39, s4, s5
	s_add_u32 s40, s42, s40
	s_addc_u32 s39, 0, s39
	s_mul_hi_u32 s43, s38, s41
	s_mul_i32 s41, s38, s41
	s_add_u32 s40, s40, s41
	s_mul_hi_u32 s42, s38, s5
	s_addc_u32 s39, s39, s43
	s_addc_u32 s40, s42, 0
	s_mul_i32 s5, s38, s5
	s_add_u32 s5, s39, s5
	s_addc_u32 s39, 0, s40
	s_add_u32 s40, s4, s5
	s_cselect_b64 s[4:5], -1, 0
	s_cmp_lg_u64 s[4:5], 0
	s_addc_u32 s38, s38, s39
	s_mul_i32 s4, s9, s38
	s_mul_hi_u32 s5, s9, s40
	s_add_i32 s4, s5, s4
	s_mul_i32 s23, s23, s40
	s_add_i32 s4, s4, s23
	s_mul_i32 s9, s9, s40
	s_mul_hi_u32 s23, s38, s9
	s_mul_i32 s39, s38, s9
	s_mul_i32 s42, s40, s4
	s_mul_hi_u32 s9, s40, s9
	s_mul_hi_u32 s41, s40, s4
	s_add_u32 s9, s9, s42
	s_addc_u32 s41, 0, s41
	s_add_u32 s9, s9, s39
	s_mul_hi_u32 s5, s38, s4
	s_addc_u32 s9, s41, s23
	s_addc_u32 s5, s5, 0
	s_mul_i32 s4, s38, s4
	s_add_u32 s4, s9, s4
	s_addc_u32 s9, 0, s5
	s_add_u32 s23, s40, s4
	s_cselect_b64 s[4:5], -1, 0
	s_cmp_lg_u64 s[4:5], 0
	s_addc_u32 s9, s38, s9
	v_addc_co_u32_e32 v11, vcc, v10, v13, vcc
	v_mad_u64_u32 v[9:10], s[4:5], v14, s9, 0
	v_mul_hi_u32 v12, v14, s23
	v_xor_b32_e32 v15, v11, v13
	v_add_co_u32_e32 v24, vcc, v12, v9
	v_addc_co_u32_e32 v25, vcc, 0, v10, vcc
	v_mad_u64_u32 v[9:10], s[4:5], v15, s23, 0
	v_mad_u64_u32 v[11:12], s[4:5], v15, s9, 0
	v_add_co_u32_e32 v9, vcc, v24, v9
	v_addc_co_u32_e32 v9, vcc, v25, v10, vcc
	v_addc_co_u32_e32 v10, vcc, 0, v12, vcc
	v_add_co_u32_e32 v11, vcc, v9, v11
	v_addc_co_u32_e32 v9, vcc, 0, v10, vcc
	v_mul_lo_u32 v12, s37, v11
	v_mul_lo_u32 v24, s36, v9
	v_mad_u64_u32 v[9:10], s[4:5], s36, v11, 0
	v_add3_u32 v10, v10, v24, v12
	v_sub_u32_e32 v12, v15, v10
	v_mov_b32_e32 v24, s37
	v_sub_co_u32_e32 v9, vcc, v14, v9
	v_subb_co_u32_e64 v12, s[4:5], v12, v24, vcc
	v_subrev_co_u32_e64 v14, s[4:5], s36, v9
	v_subbrev_co_u32_e64 v12, s[4:5], 0, v12, s[4:5]
	v_cmp_le_u32_e64 s[4:5], s37, v12
	v_subb_co_u32_e32 v10, vcc, v15, v10, vcc
	v_cndmask_b32_e64 v24, 0, -1, s[4:5]
	v_cmp_le_u32_e64 s[4:5], s36, v14
	v_cmp_le_u32_e32 vcc, s37, v10
	v_cndmask_b32_e64 v14, 0, -1, s[4:5]
	v_cmp_eq_u32_e64 s[4:5], s37, v12
	v_cndmask_b32_e64 v15, 0, -1, vcc
	v_cmp_le_u32_e32 vcc, s36, v9
	v_cndmask_b32_e64 v12, v24, v14, s[4:5]
	v_cndmask_b32_e64 v9, 0, -1, vcc
	v_cmp_eq_u32_e32 vcc, s37, v10
	v_add_co_u32_e64 v14, s[4:5], 2, v11
	v_add_co_u32_e64 v24, s[4:5], 1, v11
	v_cndmask_b32_e32 v9, v15, v9, vcc
	v_cmp_ne_u32_e32 vcc, 0, v12
	v_cndmask_b32_e32 v10, v24, v14, vcc
	v_cmp_ne_u32_e32 vcc, 0, v9
	v_cndmask_b32_e32 v9, v11, v10, vcc
	v_xor_b32_e32 v10, s8, v13
	v_xor_b32_e32 v9, v9, v10
	v_sub_co_u32_e32 v11, vcc, v9, v10
                                        ; implicit-def: $vgpr9_vgpr10
.LBB2_38:                               ;   in Loop: Header=BB2_28 Depth=2
	s_andn2_saveexec_b64 s[4:5], s[6:7]
	s_cbranch_execz .LBB2_40
; %bb.39:                               ;   in Loop: Header=BB2_28 Depth=2
	v_cvt_f32_u32_e32 v10, s45
	s_sub_i32 s6, 0, s45
	v_rcp_iflag_f32_e32 v10, v10
	v_mul_f32_e32 v10, 0x4f7ffffe, v10
	v_cvt_u32_f32_e32 v10, v10
	v_mul_lo_u32 v11, s6, v10
	v_mul_hi_u32 v11, v10, v11
	v_add_u32_e32 v10, v10, v11
	v_mul_hi_u32 v10, v9, v10
	v_mul_lo_u32 v11, v10, s45
	v_add_u32_e32 v12, 1, v10
	v_sub_u32_e32 v9, v9, v11
	v_subrev_u32_e32 v11, s45, v9
	v_cmp_le_u32_e32 vcc, s45, v9
	v_cndmask_b32_e32 v9, v9, v11, vcc
	v_cndmask_b32_e32 v10, v10, v12, vcc
	v_add_u32_e32 v11, 1, v10
	v_cmp_le_u32_e32 vcc, s45, v9
	v_cndmask_b32_e32 v11, v10, v11, vcc
.LBB2_40:                               ;   in Loop: Header=BB2_28 Depth=2
	s_or_b64 exec, exec, s[4:5]
	v_mad_u64_u32 v[12:13], s[4:5], v6, s18, v[7:8]
	s_andn2_b64 vcc, exec, s[26:27]
	v_add_u32_e32 v8, v23, v12
	v_ashrrev_i32_e32 v9, 31, v8
	s_cbranch_vccnz .LBB2_26
; %bb.41:                               ;   in Loop: Header=BB2_28 Depth=2
	v_sub_u32_e32 v10, v11, v12
	v_ashrrev_i32_e32 v13, 31, v12
	v_add_u32_e32 v24, 1, v10
	v_mad_u64_u32 v[10:11], s[4:5], s14, v12, v[3:4]
	v_mul_lo_u32 v12, s15, v12
	v_mul_lo_u32 v13, s14, v13
	v_add_u32_e32 v6, v5, v6
	v_mad_u64_u32 v[6:7], s[4:5], s18, v6, v[7:8]
	s_mov_b32 s23, 0
	v_cmp_lt_i32_e32 vcc, 0, v24
	v_add3_u32 v11, v12, v11, v13
	v_mov_b32_e32 v7, 0xfffffc00
	s_branch .LBB2_44
.LBB2_42:                               ;   in Loop: Header=BB2_44 Depth=3
	s_or_b64 exec, exec, s[38:39]
.LBB2_43:                               ;   in Loop: Header=BB2_44 Depth=3
	s_or_b64 exec, exec, s[36:37]
	s_add_i32 s23, s23, 1
	v_mov_b32_e32 v12, s11
	v_add_co_u32_e64 v10, s[4:5], s10, v10
	v_addc_co_u32_e64 v11, s[4:5], v11, v12, s[4:5]
	s_cmp_lt_i32 s23, s16
	v_add_u32_e32 v6, s57, v6
	s_cbranch_scc0 .LBB2_27
.LBB2_44:                               ;   Parent Loop BB2_12 Depth=1
                                        ;     Parent Loop BB2_28 Depth=2
                                        ; =>    This Loop Header: Depth=3
                                        ;         Child Loop BB2_47 Depth 4
                                        ;           Child Loop BB2_49 Depth 5
	s_and_saveexec_b64 s[36:37], s[2:3]
	s_cbranch_execz .LBB2_43
; %bb.45:                               ;   in Loop: Header=BB2_44 Depth=3
	v_mov_b32_e32 v13, v11
	s_mov_b32 s58, 0
	s_mov_b64 s[38:39], 0
	v_mov_b32_e32 v25, v6
	v_mov_b32_e32 v12, v10
	s_branch .LBB2_47
.LBB2_46:                               ;   in Loop: Header=BB2_47 Depth=4
	s_or_b64 exec, exec, s[40:41]
	v_mov_b32_e32 v14, s13
	v_add_co_u32_e64 v12, s[4:5], s12, v12
	s_add_i32 s58, s58, 1
	v_addc_co_u32_e64 v13, s[4:5], v13, v14, s[4:5]
	v_cmp_ge_i32_e64 s[4:5], s58, v18
	s_or_b64 s[38:39], s[4:5], s[38:39]
	v_add_u32_e32 v25, s18, v25
	s_andn2_b64 exec, exec, s[38:39]
	s_cbranch_execz .LBB2_42
.LBB2_47:                               ;   Parent Loop BB2_12 Depth=1
                                        ;     Parent Loop BB2_28 Depth=2
                                        ;       Parent Loop BB2_44 Depth=3
                                        ; =>      This Loop Header: Depth=4
                                        ;           Child Loop BB2_49 Depth 5
	s_and_saveexec_b64 s[40:41], vcc
	s_cbranch_execz .LBB2_46
; %bb.48:                               ;   in Loop: Header=BB2_47 Depth=4
	v_mov_b32_e32 v15, v13
	s_mov_b32 s59, 0
	s_mov_b64 s[42:43], 0
	v_mov_b32_e32 v14, v12
.LBB2_49:                               ;   Parent Loop BB2_12 Depth=1
                                        ;     Parent Loop BB2_28 Depth=2
                                        ;       Parent Loop BB2_44 Depth=3
                                        ;         Parent Loop BB2_47 Depth=4
                                        ; =>        This Inner Loop Header: Depth=5
	global_load_ushort v26, v[14:15], off
	v_mov_b32_e32 v28, s15
	v_add_co_u32_e64 v14, s[4:5], s14, v14
	v_add_u32_e32 v27, s59, v25
	s_add_i32 s59, s59, 1
	v_addc_co_u32_e64 v15, s[4:5], v15, v28, s[4:5]
	v_ashrrev_i32_e32 v29, 31, v27
	v_cmp_ge_i32_e64 s[4:5], s59, v24
	s_waitcnt vmcnt(0)
	v_cmp_gt_f16_e64 s[6:7], v26, v7
	v_cmp_u_f16_e64 s[8:9], v26, v26
	s_or_b64 s[6:7], s[6:7], s[8:9]
	v_cndmask_b32_e64 v7, v7, v26, s[6:7]
	v_cndmask_b32_e64 v9, v9, v29, s[6:7]
	s_or_b64 s[42:43], s[4:5], s[42:43]
	v_cndmask_b32_e64 v8, v8, v27, s[6:7]
	s_andn2_b64 exec, exec, s[42:43]
	s_cbranch_execnz .LBB2_49
; %bb.50:                               ;   in Loop: Header=BB2_47 Depth=4
	s_or_b64 exec, exec, s[42:43]
	s_branch .LBB2_46
.LBB2_51:
	s_endpgm
.LBB2_52:
                                        ; implicit-def: $sgpr28_sgpr29
	s_branch .LBB2_2
.LBB2_53:
                                        ; implicit-def: $sgpr30_sgpr31
	s_branch .LBB2_5
.LBB2_54:
                                        ; implicit-def: $sgpr26_sgpr27
	s_load_dword s3, s[4:5], 0x64
	s_andn2_b64 vcc, exec, s[10:11]
	s_cbranch_vccz .LBB2_8
	s_branch .LBB2_9
	.section	.rodata,"a",@progbits
	.p2align	6, 0x0
	.amdhsa_kernel _ZN2at6native12_GLOBAL__N_115adaptivemaxpoolIN3c104HalfEEEvPKT_PS5_Pliiiiiilllll
		.amdhsa_group_segment_fixed_size 0
		.amdhsa_private_segment_fixed_size 0
		.amdhsa_kernarg_size 344
		.amdhsa_user_sgpr_count 6
		.amdhsa_user_sgpr_private_segment_buffer 1
		.amdhsa_user_sgpr_dispatch_ptr 0
		.amdhsa_user_sgpr_queue_ptr 0
		.amdhsa_user_sgpr_kernarg_segment_ptr 1
		.amdhsa_user_sgpr_dispatch_id 0
		.amdhsa_user_sgpr_flat_scratch_init 0
		.amdhsa_user_sgpr_private_segment_size 0
		.amdhsa_uses_dynamic_stack 0
		.amdhsa_system_sgpr_private_segment_wavefront_offset 0
		.amdhsa_system_sgpr_workgroup_id_x 1
		.amdhsa_system_sgpr_workgroup_id_y 1
		.amdhsa_system_sgpr_workgroup_id_z 0
		.amdhsa_system_sgpr_workgroup_info 0
		.amdhsa_system_vgpr_workitem_id 1
		.amdhsa_next_free_vgpr 30
		.amdhsa_next_free_sgpr 60
		.amdhsa_reserve_vcc 1
		.amdhsa_reserve_flat_scratch 0
		.amdhsa_float_round_mode_32 0
		.amdhsa_float_round_mode_16_64 0
		.amdhsa_float_denorm_mode_32 3
		.amdhsa_float_denorm_mode_16_64 3
		.amdhsa_dx10_clamp 1
		.amdhsa_ieee_mode 1
		.amdhsa_fp16_overflow 0
		.amdhsa_exception_fp_ieee_invalid_op 0
		.amdhsa_exception_fp_denorm_src 0
		.amdhsa_exception_fp_ieee_div_zero 0
		.amdhsa_exception_fp_ieee_overflow 0
		.amdhsa_exception_fp_ieee_underflow 0
		.amdhsa_exception_fp_ieee_inexact 0
		.amdhsa_exception_int_div_zero 0
	.end_amdhsa_kernel
	.section	.text._ZN2at6native12_GLOBAL__N_115adaptivemaxpoolIN3c104HalfEEEvPKT_PS5_Pliiiiiilllll,"axG",@progbits,_ZN2at6native12_GLOBAL__N_115adaptivemaxpoolIN3c104HalfEEEvPKT_PS5_Pliiiiiilllll,comdat
.Lfunc_end2:
	.size	_ZN2at6native12_GLOBAL__N_115adaptivemaxpoolIN3c104HalfEEEvPKT_PS5_Pliiiiiilllll, .Lfunc_end2-_ZN2at6native12_GLOBAL__N_115adaptivemaxpoolIN3c104HalfEEEvPKT_PS5_Pliiiiiilllll
                                        ; -- End function
	.set _ZN2at6native12_GLOBAL__N_115adaptivemaxpoolIN3c104HalfEEEvPKT_PS5_Pliiiiiilllll.num_vgpr, 30
	.set _ZN2at6native12_GLOBAL__N_115adaptivemaxpoolIN3c104HalfEEEvPKT_PS5_Pliiiiiilllll.num_agpr, 0
	.set _ZN2at6native12_GLOBAL__N_115adaptivemaxpoolIN3c104HalfEEEvPKT_PS5_Pliiiiiilllll.numbered_sgpr, 60
	.set _ZN2at6native12_GLOBAL__N_115adaptivemaxpoolIN3c104HalfEEEvPKT_PS5_Pliiiiiilllll.num_named_barrier, 0
	.set _ZN2at6native12_GLOBAL__N_115adaptivemaxpoolIN3c104HalfEEEvPKT_PS5_Pliiiiiilllll.private_seg_size, 0
	.set _ZN2at6native12_GLOBAL__N_115adaptivemaxpoolIN3c104HalfEEEvPKT_PS5_Pliiiiiilllll.uses_vcc, 1
	.set _ZN2at6native12_GLOBAL__N_115adaptivemaxpoolIN3c104HalfEEEvPKT_PS5_Pliiiiiilllll.uses_flat_scratch, 0
	.set _ZN2at6native12_GLOBAL__N_115adaptivemaxpoolIN3c104HalfEEEvPKT_PS5_Pliiiiiilllll.has_dyn_sized_stack, 0
	.set _ZN2at6native12_GLOBAL__N_115adaptivemaxpoolIN3c104HalfEEEvPKT_PS5_Pliiiiiilllll.has_recursion, 0
	.set _ZN2at6native12_GLOBAL__N_115adaptivemaxpoolIN3c104HalfEEEvPKT_PS5_Pliiiiiilllll.has_indirect_call, 0
	.section	.AMDGPU.csdata,"",@progbits
; Kernel info:
; codeLenInByte = 7268
; TotalNumSgprs: 64
; NumVgprs: 30
; ScratchSize: 0
; MemoryBound: 0
; FloatMode: 240
; IeeeMode: 1
; LDSByteSize: 0 bytes/workgroup (compile time only)
; SGPRBlocks: 7
; VGPRBlocks: 7
; NumSGPRsForWavesPerEU: 64
; NumVGPRsForWavesPerEU: 30
; Occupancy: 8
; WaveLimiterHint : 0
; COMPUTE_PGM_RSRC2:SCRATCH_EN: 0
; COMPUTE_PGM_RSRC2:USER_SGPR: 6
; COMPUTE_PGM_RSRC2:TRAP_HANDLER: 0
; COMPUTE_PGM_RSRC2:TGID_X_EN: 1
; COMPUTE_PGM_RSRC2:TGID_Y_EN: 1
; COMPUTE_PGM_RSRC2:TGID_Z_EN: 0
; COMPUTE_PGM_RSRC2:TIDIG_COMP_CNT: 1
	.section	.text._ZN2at6native12_GLOBAL__N_115adaptivemaxpoolIN3c108BFloat16EEEvPKT_PS5_Pliiiiiilllll,"axG",@progbits,_ZN2at6native12_GLOBAL__N_115adaptivemaxpoolIN3c108BFloat16EEEvPKT_PS5_Pliiiiiilllll,comdat
	.globl	_ZN2at6native12_GLOBAL__N_115adaptivemaxpoolIN3c108BFloat16EEEvPKT_PS5_Pliiiiiilllll ; -- Begin function _ZN2at6native12_GLOBAL__N_115adaptivemaxpoolIN3c108BFloat16EEEvPKT_PS5_Pliiiiiilllll
	.p2align	8
	.type	_ZN2at6native12_GLOBAL__N_115adaptivemaxpoolIN3c108BFloat16EEEvPKT_PS5_Pliiiiiilllll,@function
_ZN2at6native12_GLOBAL__N_115adaptivemaxpoolIN3c108BFloat16EEEvPKT_PS5_Pliiiiiilllll: ; @_ZN2at6native12_GLOBAL__N_115adaptivemaxpoolIN3c108BFloat16EEEvPKT_PS5_Pliiiiiilllll
; %bb.0:
	s_load_dwordx2 s[0:1], s[4:5], 0x50
	s_load_dwordx4 s[16:19], s[4:5], 0x18
	s_load_dwordx2 s[24:25], s[4:5], 0x28
	s_mov_b32 s8, 0
	s_waitcnt lgkmcnt(0)
	s_add_u32 s0, s0, s6
	s_addc_u32 s1, s1, 0
	s_ashr_i32 s3, s19, 31
	s_mov_b32 s2, s19
	s_or_b64 s[10:11], s[0:1], s[2:3]
	s_mov_b32 s9, s11
	s_cmp_lg_u64 s[8:9], 0
	s_cbranch_scc0 .LBB3_52
; %bb.1:
	s_ashr_i32 s8, s3, 31
	s_add_u32 s10, s2, s8
	s_mov_b32 s9, s8
	s_addc_u32 s11, s3, s8
	s_xor_b64 s[12:13], s[10:11], s[8:9]
	v_cvt_f32_u32_e32 v2, s12
	v_cvt_f32_u32_e32 v3, s13
	s_sub_u32 s6, 0, s12
	s_subb_u32 s19, 0, s13
	v_madmk_f32 v2, v3, 0x4f800000, v2
	v_rcp_f32_e32 v2, v2
	v_mul_f32_e32 v2, 0x5f7ffffc, v2
	v_mul_f32_e32 v3, 0x2f800000, v2
	v_trunc_f32_e32 v3, v3
	v_madmk_f32 v2, v3, 0xcf800000, v2
	v_cvt_u32_f32_e32 v3, v3
	v_cvt_u32_f32_e32 v2, v2
	v_readfirstlane_b32 s20, v3
	v_readfirstlane_b32 s14, v2
	s_mul_i32 s15, s6, s20
	s_mul_hi_u32 s22, s6, s14
	s_mul_i32 s21, s19, s14
	s_add_i32 s15, s22, s15
	s_add_i32 s15, s15, s21
	s_mul_i32 s23, s6, s14
	s_mul_i32 s22, s14, s15
	s_mul_hi_u32 s26, s14, s23
	s_mul_hi_u32 s21, s14, s15
	s_add_u32 s22, s26, s22
	s_addc_u32 s21, 0, s21
	s_mul_hi_u32 s27, s20, s23
	s_mul_i32 s23, s20, s23
	s_add_u32 s22, s22, s23
	s_mul_hi_u32 s26, s20, s15
	s_addc_u32 s21, s21, s27
	s_addc_u32 s22, s26, 0
	s_mul_i32 s15, s20, s15
	s_add_u32 s15, s21, s15
	s_addc_u32 s21, 0, s22
	s_add_u32 s22, s14, s15
	s_cselect_b64 s[14:15], -1, 0
	s_cmp_lg_u64 s[14:15], 0
	s_addc_u32 s20, s20, s21
	s_mul_i32 s14, s6, s20
	s_mul_hi_u32 s15, s6, s22
	s_add_i32 s14, s15, s14
	s_mul_i32 s19, s19, s22
	s_add_i32 s14, s14, s19
	s_mul_i32 s6, s6, s22
	s_mul_hi_u32 s19, s20, s6
	s_mul_i32 s21, s20, s6
	s_mul_i32 s26, s22, s14
	s_mul_hi_u32 s6, s22, s6
	s_mul_hi_u32 s23, s22, s14
	s_add_u32 s6, s6, s26
	s_addc_u32 s23, 0, s23
	s_add_u32 s6, s6, s21
	s_mul_hi_u32 s15, s20, s14
	s_addc_u32 s6, s23, s19
	s_addc_u32 s15, s15, 0
	s_mul_i32 s14, s20, s14
	s_add_u32 s6, s6, s14
	s_addc_u32 s19, 0, s15
	s_add_u32 s6, s22, s6
	s_cselect_b64 s[14:15], -1, 0
	s_cmp_lg_u64 s[14:15], 0
	s_addc_u32 s19, s20, s19
	s_ashr_i32 s14, s1, 31
	s_add_u32 s20, s0, s14
	s_mov_b32 s15, s14
	s_addc_u32 s21, s1, s14
	s_xor_b64 s[20:21], s[20:21], s[14:15]
	s_mul_i32 s23, s20, s19
	s_mul_hi_u32 s26, s20, s6
	s_mul_hi_u32 s22, s20, s19
	s_add_u32 s23, s26, s23
	s_addc_u32 s22, 0, s22
	s_mul_hi_u32 s27, s21, s6
	s_mul_i32 s6, s21, s6
	s_add_u32 s6, s23, s6
	s_mul_hi_u32 s26, s21, s19
	s_addc_u32 s6, s22, s27
	s_addc_u32 s22, s26, 0
	s_mul_i32 s19, s21, s19
	s_add_u32 s6, s6, s19
	s_addc_u32 s19, 0, s22
	s_mul_i32 s22, s12, s19
	s_mul_hi_u32 s23, s12, s6
	s_add_i32 s22, s23, s22
	s_mul_i32 s23, s13, s6
	s_add_i32 s28, s22, s23
	s_sub_i32 s26, s21, s28
	s_mul_i32 s22, s12, s6
	s_sub_u32 s20, s20, s22
	s_cselect_b64 s[22:23], -1, 0
	s_cmp_lg_u64 s[22:23], 0
	s_subb_u32 s29, s26, s13
	s_sub_u32 s30, s20, s12
	s_cselect_b64 s[26:27], -1, 0
	s_cmp_lg_u64 s[26:27], 0
	s_subb_u32 s26, s29, 0
	s_cmp_ge_u32 s26, s13
	s_cselect_b32 s27, -1, 0
	s_cmp_ge_u32 s30, s12
	s_cselect_b32 s29, -1, 0
	s_cmp_eq_u32 s26, s13
	s_cselect_b32 s26, s29, s27
	s_add_u32 s27, s6, 1
	s_addc_u32 s29, s19, 0
	s_add_u32 s30, s6, 2
	s_addc_u32 s31, s19, 0
	s_cmp_lg_u32 s26, 0
	s_cselect_b32 s26, s30, s27
	s_cselect_b32 s27, s31, s29
	s_cmp_lg_u64 s[22:23], 0
	s_subb_u32 s21, s21, s28
	s_cmp_ge_u32 s21, s13
	s_cselect_b32 s22, -1, 0
	s_cmp_ge_u32 s20, s12
	s_cselect_b32 s12, -1, 0
	s_cmp_eq_u32 s21, s13
	s_cselect_b32 s12, s12, s22
	s_cmp_lg_u32 s12, 0
	s_cselect_b32 s13, s27, s19
	s_cselect_b32 s12, s26, s6
	s_xor_b64 s[8:9], s[14:15], s[8:9]
	s_xor_b64 s[12:13], s[12:13], s[8:9]
	s_sub_u32 s28, s12, s8
	s_subb_u32 s29, s13, s9
	s_cbranch_execnz .LBB3_3
.LBB3_2:
	v_cvt_f32_u32_e32 v2, s2
	s_sub_i32 s6, 0, s2
	s_mov_b32 s29, 0
	v_rcp_iflag_f32_e32 v2, v2
	v_mul_f32_e32 v2, 0x4f7ffffe, v2
	v_cvt_u32_f32_e32 v2, v2
	v_readfirstlane_b32 s8, v2
	s_mul_i32 s6, s6, s8
	s_mul_hi_u32 s6, s8, s6
	s_add_i32 s8, s8, s6
	s_mul_hi_u32 s6, s0, s8
	s_mul_i32 s9, s6, s2
	s_sub_i32 s9, s0, s9
	s_add_i32 s8, s6, 1
	s_sub_i32 s10, s9, s2
	s_cmp_ge_u32 s9, s2
	s_cselect_b32 s6, s8, s6
	s_cselect_b32 s9, s10, s9
	s_add_i32 s8, s6, 1
	s_cmp_ge_u32 s9, s2
	s_cselect_b32 s28, s8, s6
.LBB3_3:
	s_mul_i32 s6, s28, s3
	s_mul_hi_u32 s8, s28, s2
	s_add_i32 s6, s8, s6
	s_mul_i32 s8, s29, s2
	s_add_i32 s6, s6, s8
	s_mul_i32 s8, s28, s2
	s_sub_u32 s20, s0, s8
	s_subb_u32 s21, s1, s6
	s_abs_i32 s8, s2
	v_cvt_f32_u32_e32 v2, s8
	s_sub_i32 s12, 0, s8
	s_abs_i32 s11, s20
	s_xor_b32 s9, s20, s2
	v_rcp_iflag_f32_e32 v2, v2
	s_ashr_i32 s6, s16, 31
	s_ashr_i32 s9, s9, 31
	s_mov_b32 s10, 0
	v_mul_f32_e32 v2, 0x4f7ffffe, v2
	v_cvt_u32_f32_e32 v2, v2
	v_readfirstlane_b32 s13, v2
	s_mul_i32 s12, s12, s13
	s_mul_hi_u32 s12, s13, s12
	s_add_i32 s13, s13, s12
	s_mul_hi_u32 s12, s11, s13
	s_mul_i32 s13, s12, s8
	s_sub_i32 s11, s11, s13
	s_add_i32 s13, s12, 1
	s_sub_i32 s14, s11, s8
	s_cmp_ge_u32 s11, s8
	s_cselect_b32 s12, s13, s12
	s_cselect_b32 s11, s14, s11
	s_add_i32 s13, s12, 1
	s_cmp_ge_u32 s11, s8
	s_cselect_b32 s8, s13, s12
	s_xor_b32 s8, s8, s9
	s_sub_i32 s19, s8, s9
	s_mul_i32 s8, s19, s2
	s_sub_i32 s8, s20, s8
	s_mul_hi_i32 s9, s8, s16
	s_mul_i32 s8, s8, s16
	s_or_b64 s[12:13], s[8:9], s[2:3]
	s_mov_b32 s11, s13
	s_cmp_lg_u64 s[10:11], 0
	s_cbranch_scc0 .LBB3_53
; %bb.4:
	s_ashr_i32 s10, s3, 31
	s_add_u32 s12, s2, s10
	s_mov_b32 s11, s10
	s_addc_u32 s13, s3, s10
	s_xor_b64 s[14:15], s[12:13], s[10:11]
	v_cvt_f32_u32_e32 v2, s14
	v_cvt_f32_u32_e32 v3, s15
	s_sub_u32 s26, 0, s14
	s_subb_u32 s27, 0, s15
	v_madmk_f32 v2, v3, 0x4f800000, v2
	v_rcp_f32_e32 v2, v2
	v_mul_f32_e32 v2, 0x5f7ffffc, v2
	v_mul_f32_e32 v3, 0x2f800000, v2
	v_trunc_f32_e32 v3, v3
	v_madmk_f32 v2, v3, 0xcf800000, v2
	v_cvt_u32_f32_e32 v3, v3
	v_cvt_u32_f32_e32 v2, v2
	v_readfirstlane_b32 s30, v3
	v_readfirstlane_b32 s22, v2
	s_mul_i32 s23, s26, s30
	s_mul_hi_u32 s33, s26, s22
	s_mul_i32 s31, s27, s22
	s_add_i32 s23, s33, s23
	s_add_i32 s23, s23, s31
	s_mul_i32 s34, s26, s22
	s_mul_i32 s33, s22, s23
	s_mul_hi_u32 s35, s22, s34
	s_mul_hi_u32 s31, s22, s23
	s_add_u32 s33, s35, s33
	s_addc_u32 s31, 0, s31
	s_mul_hi_u32 s36, s30, s34
	s_mul_i32 s34, s30, s34
	s_add_u32 s33, s33, s34
	s_mul_hi_u32 s35, s30, s23
	s_addc_u32 s31, s31, s36
	s_addc_u32 s33, s35, 0
	s_mul_i32 s23, s30, s23
	s_add_u32 s23, s31, s23
	s_addc_u32 s31, 0, s33
	s_add_u32 s33, s22, s23
	s_cselect_b64 s[22:23], -1, 0
	s_cmp_lg_u64 s[22:23], 0
	s_addc_u32 s30, s30, s31
	s_mul_i32 s22, s26, s30
	s_mul_hi_u32 s23, s26, s33
	s_add_i32 s22, s23, s22
	s_mul_i32 s27, s27, s33
	s_add_i32 s22, s22, s27
	s_mul_i32 s26, s26, s33
	s_mul_hi_u32 s27, s30, s26
	s_mul_i32 s31, s30, s26
	s_mul_i32 s35, s33, s22
	s_mul_hi_u32 s26, s33, s26
	s_mul_hi_u32 s34, s33, s22
	s_add_u32 s26, s26, s35
	s_addc_u32 s34, 0, s34
	s_add_u32 s26, s26, s31
	s_mul_hi_u32 s23, s30, s22
	s_addc_u32 s26, s34, s27
	s_addc_u32 s23, s23, 0
	s_mul_i32 s22, s30, s22
	s_add_u32 s22, s26, s22
	s_addc_u32 s26, 0, s23
	s_add_u32 s31, s33, s22
	s_cselect_b64 s[22:23], -1, 0
	s_cmp_lg_u64 s[22:23], 0
	s_addc_u32 s30, s30, s26
	s_ashr_i32 s22, s9, 31
	s_add_u32 s26, s8, s22
	s_mov_b32 s23, s22
	s_addc_u32 s27, s9, s22
	s_xor_b64 s[26:27], s[26:27], s[22:23]
	s_mul_i32 s33, s26, s30
	s_mul_hi_u32 s34, s26, s31
	s_mul_hi_u32 s9, s26, s30
	s_add_u32 s33, s34, s33
	s_addc_u32 s9, 0, s9
	s_mul_hi_u32 s35, s27, s31
	s_mul_i32 s31, s27, s31
	s_add_u32 s31, s33, s31
	s_mul_hi_u32 s34, s27, s30
	s_addc_u32 s9, s9, s35
	s_addc_u32 s31, s34, 0
	s_mul_i32 s30, s27, s30
	s_add_u32 s9, s9, s30
	s_addc_u32 s33, 0, s31
	s_mul_i32 s30, s14, s33
	s_mul_hi_u32 s31, s14, s9
	s_add_i32 s30, s31, s30
	s_mul_i32 s31, s15, s9
	s_add_i32 s36, s30, s31
	s_sub_i32 s34, s27, s36
	s_mul_i32 s30, s14, s9
	s_sub_u32 s26, s26, s30
	s_cselect_b64 s[30:31], -1, 0
	s_cmp_lg_u64 s[30:31], 0
	s_subb_u32 s37, s34, s15
	s_sub_u32 s38, s26, s14
	s_cselect_b64 s[34:35], -1, 0
	s_cmp_lg_u64 s[34:35], 0
	s_subb_u32 s34, s37, 0
	s_cmp_ge_u32 s34, s15
	s_cselect_b32 s35, -1, 0
	s_cmp_ge_u32 s38, s14
	s_cselect_b32 s37, -1, 0
	s_cmp_eq_u32 s34, s15
	s_cselect_b32 s34, s37, s35
	s_add_u32 s35, s9, 1
	s_addc_u32 s37, s33, 0
	s_add_u32 s38, s9, 2
	s_addc_u32 s39, s33, 0
	s_cmp_lg_u32 s34, 0
	s_cselect_b32 s34, s38, s35
	s_cselect_b32 s35, s39, s37
	s_cmp_lg_u64 s[30:31], 0
	s_subb_u32 s27, s27, s36
	s_cmp_ge_u32 s27, s15
	s_cselect_b32 s30, -1, 0
	s_cmp_ge_u32 s26, s14
	s_cselect_b32 s14, -1, 0
	s_cmp_eq_u32 s27, s15
	s_cselect_b32 s14, s14, s30
	s_cmp_lg_u32 s14, 0
	s_cselect_b32 s15, s35, s33
	s_cselect_b32 s14, s34, s9
	s_xor_b64 s[10:11], s[22:23], s[10:11]
	s_xor_b64 s[14:15], s[14:15], s[10:11]
	s_sub_u32 s30, s14, s10
	s_subb_u32 s31, s15, s11
	s_cbranch_execnz .LBB3_6
.LBB3_5:
	v_cvt_f32_u32_e32 v2, s2
	s_sub_i32 s9, 0, s2
	s_mov_b32 s31, 0
	v_rcp_iflag_f32_e32 v2, v2
	v_mul_f32_e32 v2, 0x4f7ffffe, v2
	v_cvt_u32_f32_e32 v2, v2
	v_readfirstlane_b32 s10, v2
	s_mul_i32 s9, s9, s10
	s_mul_hi_u32 s9, s10, s9
	s_add_i32 s10, s10, s9
	s_mul_hi_u32 s9, s8, s10
	s_mul_i32 s11, s9, s2
	s_sub_i32 s8, s8, s11
	s_add_i32 s10, s9, 1
	s_sub_i32 s11, s8, s2
	s_cmp_ge_u32 s8, s2
	s_cselect_b32 s9, s10, s9
	s_cselect_b32 s8, s11, s8
	s_add_i32 s10, s9, 1
	s_cmp_ge_u32 s8, s2
	s_cselect_b32 s30, s10, s9
.LBB3_6:
	s_add_u32 s8, s20, 1
	s_addc_u32 s9, s21, 0
	s_mul_i32 s10, s8, s6
	s_mul_hi_u32 s11, s8, s16
	s_add_i32 s10, s11, s10
	s_mul_i32 s9, s9, s16
	s_add_i32 s10, s10, s9
	s_mul_i32 s8, s8, s16
	s_add_u32 s8, s8, -1
	s_addc_u32 s9, s10, -1
	s_or_b64 s[10:11], s[8:9], s[2:3]
	s_mov_b32 s10, 0
	s_cmp_lg_u64 s[10:11], 0
	s_mov_b64 s[10:11], -1
	s_cbranch_scc0 .LBB3_54
; %bb.7:
	s_ashr_i32 s12, s3, 31
	s_add_u32 s10, s2, s12
	s_mov_b32 s13, s12
	s_addc_u32 s11, s3, s12
	s_xor_b64 s[14:15], s[10:11], s[12:13]
	v_cvt_f32_u32_e32 v2, s14
	v_cvt_f32_u32_e32 v3, s15
	s_sub_u32 s3, 0, s14
	s_subb_u32 s22, 0, s15
	v_madmk_f32 v2, v3, 0x4f800000, v2
	v_rcp_f32_e32 v2, v2
	v_mul_f32_e32 v2, 0x5f7ffffc, v2
	v_mul_f32_e32 v3, 0x2f800000, v2
	v_trunc_f32_e32 v3, v3
	v_madmk_f32 v2, v3, 0xcf800000, v2
	v_cvt_u32_f32_e32 v3, v3
	v_cvt_u32_f32_e32 v2, v2
	v_readfirstlane_b32 s23, v3
	v_readfirstlane_b32 s20, v2
	s_mul_i32 s21, s3, s23
	s_mul_hi_u32 s27, s3, s20
	s_mul_i32 s26, s22, s20
	s_add_i32 s21, s27, s21
	s_add_i32 s21, s21, s26
	s_mul_i32 s33, s3, s20
	s_mul_i32 s27, s20, s21
	s_mul_hi_u32 s34, s20, s33
	s_mul_hi_u32 s26, s20, s21
	s_add_u32 s27, s34, s27
	s_addc_u32 s26, 0, s26
	s_mul_hi_u32 s35, s23, s33
	s_mul_i32 s33, s23, s33
	s_add_u32 s27, s27, s33
	s_mul_hi_u32 s34, s23, s21
	s_addc_u32 s26, s26, s35
	s_addc_u32 s27, s34, 0
	s_mul_i32 s21, s23, s21
	s_add_u32 s21, s26, s21
	s_addc_u32 s26, 0, s27
	s_add_u32 s27, s20, s21
	s_cselect_b64 s[20:21], -1, 0
	s_cmp_lg_u64 s[20:21], 0
	s_addc_u32 s23, s23, s26
	s_mul_i32 s20, s3, s23
	s_mul_hi_u32 s21, s3, s27
	s_add_i32 s20, s21, s20
	s_mul_i32 s22, s22, s27
	s_add_i32 s20, s20, s22
	s_mul_i32 s3, s3, s27
	s_mul_hi_u32 s22, s23, s3
	s_mul_i32 s26, s23, s3
	s_mul_i32 s34, s27, s20
	s_mul_hi_u32 s3, s27, s3
	s_mul_hi_u32 s33, s27, s20
	s_add_u32 s3, s3, s34
	s_addc_u32 s33, 0, s33
	s_add_u32 s3, s3, s26
	s_mul_hi_u32 s21, s23, s20
	s_addc_u32 s3, s33, s22
	s_addc_u32 s21, s21, 0
	s_mul_i32 s20, s23, s20
	s_add_u32 s3, s3, s20
	s_addc_u32 s22, 0, s21
	s_add_u32 s3, s27, s3
	s_cselect_b64 s[20:21], -1, 0
	s_cmp_lg_u64 s[20:21], 0
	s_addc_u32 s26, s23, s22
	s_ashr_i32 s20, s9, 31
	s_add_u32 s22, s8, s20
	s_mov_b32 s21, s20
	s_addc_u32 s23, s9, s20
	s_xor_b64 s[22:23], s[22:23], s[20:21]
	s_mul_i32 s27, s22, s26
	s_mul_hi_u32 s33, s22, s3
	s_mul_hi_u32 s9, s22, s26
	s_add_u32 s27, s33, s27
	s_addc_u32 s9, 0, s9
	s_mul_hi_u32 s34, s23, s3
	s_mul_i32 s3, s23, s3
	s_add_u32 s3, s27, s3
	s_mul_hi_u32 s33, s23, s26
	s_addc_u32 s3, s9, s34
	s_addc_u32 s9, s33, 0
	s_mul_i32 s26, s23, s26
	s_add_u32 s3, s3, s26
	s_addc_u32 s9, 0, s9
	s_mul_i32 s26, s14, s9
	s_mul_hi_u32 s27, s14, s3
	s_add_i32 s26, s27, s26
	s_mul_i32 s27, s15, s3
	s_add_i32 s33, s26, s27
	s_sub_i32 s34, s23, s33
	s_mul_i32 s26, s14, s3
	s_sub_u32 s22, s22, s26
	s_cselect_b64 s[26:27], -1, 0
	s_cmp_lg_u64 s[26:27], 0
	s_subb_u32 s36, s34, s15
	s_sub_u32 s37, s22, s14
	s_cselect_b64 s[34:35], -1, 0
	s_cmp_lg_u64 s[34:35], 0
	s_subb_u32 s34, s36, 0
	s_cmp_ge_u32 s34, s15
	s_cselect_b32 s35, -1, 0
	s_cmp_ge_u32 s37, s14
	s_cselect_b32 s36, -1, 0
	s_cmp_eq_u32 s34, s15
	s_cselect_b32 s34, s36, s35
	s_add_u32 s35, s3, 1
	s_addc_u32 s36, s9, 0
	s_add_u32 s37, s3, 2
	s_addc_u32 s38, s9, 0
	s_cmp_lg_u32 s34, 0
	s_cselect_b32 s34, s37, s35
	s_cselect_b32 s35, s38, s36
	s_cmp_lg_u64 s[26:27], 0
	s_subb_u32 s23, s23, s33
	s_cmp_ge_u32 s23, s15
	s_cselect_b32 s26, -1, 0
	s_cmp_ge_u32 s22, s14
	s_cselect_b32 s14, -1, 0
	s_cmp_eq_u32 s23, s15
	s_cselect_b32 s14, s14, s26
	s_cmp_lg_u32 s14, 0
	s_cselect_b32 s15, s35, s9
	s_cselect_b32 s14, s34, s3
	s_xor_b64 s[12:13], s[20:21], s[12:13]
	s_xor_b64 s[14:15], s[14:15], s[12:13]
	s_sub_u32 s26, s14, s12
	s_load_dword s3, s[4:5], 0x64
	s_cbranch_execnz .LBB3_9
.LBB3_8:
	v_cvt_f32_u32_e32 v2, s2
	s_sub_i32 s9, 0, s2
	v_rcp_iflag_f32_e32 v2, v2
	v_mul_f32_e32 v2, 0x4f7ffffe, v2
	v_cvt_u32_f32_e32 v2, v2
	v_readfirstlane_b32 s10, v2
	s_mul_i32 s9, s9, s10
	s_mul_hi_u32 s9, s10, s9
	s_add_i32 s10, s10, s9
	s_mul_hi_u32 s9, s8, s10
	s_mul_i32 s11, s9, s2
	s_sub_i32 s8, s8, s11
	s_add_i32 s10, s9, 1
	s_sub_i32 s11, s8, s2
	s_cmp_ge_u32 s8, s2
	s_cselect_b32 s9, s10, s9
	s_cselect_b32 s8, s11, s8
	s_add_i32 s10, s9, 1
	s_cmp_ge_u32 s8, s2
	s_cselect_b32 s26, s10, s9
.LBB3_9:
	s_waitcnt lgkmcnt(0)
	s_lshr_b32 s2, s3, 16
	s_mul_i32 s7, s7, s2
	v_add_u32_e32 v16, s7, v1
	v_cmp_gt_i32_e32 vcc, s24, v16
	s_and_saveexec_b64 s[8:9], vcc
	s_cbranch_execz .LBB3_51
; %bb.10:
	s_mul_i32 s6, s19, s6
	s_mul_hi_u32 s7, s19, s16
	s_add_i32 s7, s7, s6
	s_mul_i32 s56, s19, s16
	s_add_u32 s6, s30, s56
	s_addc_u32 s7, s31, s7
	s_load_dwordx8 s[8:15], s[4:5], 0x30
	s_load_dword s50, s[4:5], 0x5c
	s_load_dwordx4 s[20:23], s[4:5], 0x0
	s_load_dwordx2 s[34:35], s[4:5], 0x10
	s_bfe_i64 s[4:5], s[28:29], 0x200000
	s_bfe_i64 s[36:37], s[6:7], 0x200000
	s_mul_i32 s7, s25, s24
	s_sub_i32 s16, s26, s6
	s_mul_hi_i32 s4, s25, s24
	s_mul_i32 s1, s7, s1
	s_mul_hi_u32 s26, s7, s0
	s_add_i32 s1, s26, s1
	s_mul_i32 s4, s4, s0
	s_mov_b32 s33, s24
	s_add_i32 s1, s1, s4
	s_mul_i32 s0, s7, s0
	s_add_i32 s16, s16, 1
	s_ashr_i32 s19, s24, 31
	s_ashr_i32 s44, s25, 31
	s_lshl_b64 s[26:27], s[0:1], 1
	v_cvt_f32_u32_e32 v1, s33
	s_waitcnt lgkmcnt(0)
	s_add_u32 s46, s22, s26
	s_addc_u32 s47, s23, s27
	s_lshl_b64 s[0:1], s[0:1], 3
	s_add_u32 s48, s34, s0
	s_addc_u32 s49, s35, s1
	s_and_b32 s51, s3, 0xffff
	s_ashr_i32 s52, s17, 31
	s_ashr_i32 s54, s18, 31
	v_rcp_iflag_f32_e32 v1, v1
	s_mul_i32 s50, s50, s2
	s_cmp_gt_i32 s16, 0
	s_mul_hi_u32 s2, s10, s6
	s_mul_i32 s3, s10, s37
	s_mul_hi_u32 s4, s8, s28
	s_mul_i32 s5, s8, s5
	s_cselect_b64 s[26:27], -1, 0
	s_add_i32 s2, s2, s3
	s_mul_i32 s3, s11, s6
	s_add_i32 s4, s4, s5
	s_mul_i32 s5, s9, s28
	;; [unrolled: 2-line block ×4, first 2 shown]
	s_lshl_b64 s[2:3], s[2:3], 1
	s_lshl_b64 s[4:5], s[4:5], 1
	v_mul_f32_e32 v1, 0x4f7ffffe, v1
	s_add_u32 s2, s2, s4
	v_cvt_u32_f32_e32 v17, v1
	s_addc_u32 s3, s3, s5
	s_add_u32 s20, s20, s2
	s_mov_b32 s45, s25
	s_mov_b32 s53, s17
	v_cmp_gt_i32_e64 s[0:1], s25, v0
	s_mul_i32 s55, s17, s6
	s_mov_b32 s22, 0
	s_addc_u32 s21, s21, s3
	s_lshl_b64 s[12:13], s[12:13], 1
	s_lshl_b64 s[14:15], s[14:15], 1
	;; [unrolled: 1-line block ×3, first 2 shown]
	s_add_i32 s56, s56, s30
	s_mul_i32 s57, s18, s17
	s_mov_b64 s[28:29], 0
	v_mov_b32_e32 v2, 0
	s_branch .LBB3_12
.LBB3_11:                               ;   in Loop: Header=BB3_12 Depth=1
	s_or_b64 exec, exec, s[30:31]
	v_add_u32_e32 v16, s50, v16
	v_cmp_le_i32_e32 vcc, s24, v16
	s_or_b64 s[28:29], vcc, s[28:29]
	s_andn2_b64 exec, exec, s[28:29]
	s_cbranch_execz .LBB3_51
.LBB3_12:                               ; =>This Loop Header: Depth=1
                                        ;     Child Loop BB3_28 Depth 2
                                        ;       Child Loop BB3_44 Depth 3
                                        ;         Child Loop BB3_47 Depth 4
                                        ;           Child Loop BB3_49 Depth 5
	v_ashrrev_i32_e32 v8, 31, v16
	v_or_b32_e32 v4, s19, v8
	v_mov_b32_e32 v3, v2
	v_cmp_ne_u64_e32 vcc, 0, v[3:4]
                                        ; implicit-def: $vgpr5_vgpr6
	s_and_saveexec_b64 s[2:3], vcc
	s_xor_b64 s[2:3], exec, s[2:3]
	s_cbranch_execz .LBB3_14
; %bb.13:                               ;   in Loop: Header=BB3_12 Depth=1
	s_ashr_i32 s4, s33, 31
	s_add_i32 s5, s33, s4
	s_xor_b32 s5, s5, s4
	v_cvt_f32_u32_e32 v1, s5
	s_sub_i32 s6, 0, s5
	v_ashrrev_i32_e32 v4, 31, v16
	v_add_u32_e32 v5, v16, v4
	v_rcp_iflag_f32_e32 v1, v1
	v_xor_b32_e32 v5, v5, v4
	v_mul_f32_e32 v1, 0x4f7ffffe, v1
	v_cvt_u32_f32_e32 v1, v1
	v_mul_lo_u32 v3, s6, v1
	v_mul_hi_u32 v3, v1, v3
	v_add_u32_e32 v1, v1, v3
	v_mul_hi_u32 v1, v5, v1
	v_mul_lo_u32 v3, v1, s5
	v_add_u32_e32 v6, 1, v1
	v_sub_u32_e32 v3, v5, v3
	v_subrev_u32_e32 v5, s5, v3
	v_cmp_le_u32_e32 vcc, s5, v3
	v_cndmask_b32_e32 v3, v3, v5, vcc
	v_cndmask_b32_e32 v1, v1, v6, vcc
	v_add_u32_e32 v5, 1, v1
	v_cmp_le_u32_e32 vcc, s5, v3
	v_cndmask_b32_e32 v1, v1, v5, vcc
	v_xor_b32_e32 v3, s4, v4
	v_xor_b32_e32 v1, v1, v3
	v_sub_u32_e32 v5, v1, v3
	v_ashrrev_i32_e32 v6, 31, v5
.LBB3_14:                               ;   in Loop: Header=BB3_12 Depth=1
	s_andn2_saveexec_b64 s[2:3], s[2:3]
	s_cbranch_execz .LBB3_16
; %bb.15:                               ;   in Loop: Header=BB3_12 Depth=1
	s_sub_i32 s4, 0, s33
	v_mul_lo_u32 v1, s4, v17
	v_mul_hi_u32 v1, v17, v1
	v_add_u32_e32 v1, v17, v1
	v_mul_hi_u32 v1, v16, v1
	v_mul_lo_u32 v3, v1, s33
	v_add_u32_e32 v4, 1, v1
	v_sub_u32_e32 v3, v16, v3
	v_subrev_u32_e32 v5, s33, v3
	v_cmp_le_u32_e32 vcc, s33, v3
	v_cndmask_b32_e32 v3, v3, v5, vcc
	v_cndmask_b32_e32 v1, v1, v4, vcc
	v_add_u32_e32 v4, 1, v1
	v_cmp_le_u32_e32 vcc, s33, v3
	v_cndmask_b32_e32 v1, v1, v4, vcc
	v_mov_b32_e32 v6, v2
	v_mov_b32_e32 v5, v1
.LBB3_16:                               ;   in Loop: Header=BB3_12 Depth=1
	s_or_b64 exec, exec, s[2:3]
	v_mul_lo_u32 v1, v6, s33
	v_mul_lo_u32 v6, v5, s19
	v_mad_u64_u32 v[3:4], s[2:3], v5, s33, 0
	v_add3_u32 v1, v4, v6, v1
	v_sub_co_u32_e32 v3, vcc, v16, v3
	v_subb_co_u32_e32 v1, vcc, v8, v1, vcc
	v_mul_lo_u32 v1, v1, s53
	v_mul_lo_u32 v6, v3, s52
	v_mad_u64_u32 v[3:4], s[2:3], v3, s53, 0
	v_add3_u32 v4, v4, v6, v1
	v_or_b32_e32 v7, s19, v4
	v_mov_b32_e32 v6, v2
	v_cmp_ne_u64_e32 vcc, 0, v[6:7]
                                        ; implicit-def: $vgpr6_vgpr7
	s_and_saveexec_b64 s[2:3], vcc
	s_xor_b64 s[4:5], exec, s[2:3]
	s_cbranch_execz .LBB3_18
; %bb.17:                               ;   in Loop: Header=BB3_12 Depth=1
	s_ashr_i32 s6, s19, 31
	s_add_u32 s2, s33, s6
	s_mov_b32 s7, s6
	s_addc_u32 s3, s19, s6
	s_xor_b64 s[8:9], s[2:3], s[6:7]
	v_cvt_f32_u32_e32 v1, s8
	v_cvt_f32_u32_e32 v6, s9
	s_sub_u32 s7, 0, s8
	s_subb_u32 s23, 0, s9
	v_mac_f32_e32 v1, 0x4f800000, v6
	v_rcp_f32_e32 v1, v1
	v_mul_f32_e32 v1, 0x5f7ffffc, v1
	v_mul_f32_e32 v6, 0x2f800000, v1
	v_trunc_f32_e32 v6, v6
	v_mac_f32_e32 v1, 0xcf800000, v6
	v_cvt_u32_f32_e32 v6, v6
	v_cvt_u32_f32_e32 v1, v1
	v_readfirstlane_b32 s30, v6
	v_readfirstlane_b32 s2, v1
	s_mul_i32 s3, s7, s30
	s_mul_hi_u32 s34, s7, s2
	s_mul_i32 s31, s23, s2
	s_add_i32 s3, s34, s3
	s_add_i32 s3, s3, s31
	s_mul_i32 s35, s7, s2
	s_mul_i32 s34, s2, s3
	s_mul_hi_u32 s36, s2, s35
	s_mul_hi_u32 s31, s2, s3
	s_add_u32 s34, s36, s34
	s_addc_u32 s31, 0, s31
	s_mul_hi_u32 s37, s30, s35
	s_mul_i32 s35, s30, s35
	s_add_u32 s34, s34, s35
	s_mul_hi_u32 s36, s30, s3
	s_addc_u32 s31, s31, s37
	s_addc_u32 s34, s36, 0
	s_mul_i32 s3, s30, s3
	s_add_u32 s3, s31, s3
	s_addc_u32 s31, 0, s34
	s_add_u32 s34, s2, s3
	s_cselect_b64 s[2:3], -1, 0
	s_cmp_lg_u64 s[2:3], 0
	s_addc_u32 s30, s30, s31
	s_mul_i32 s2, s7, s30
	s_mul_hi_u32 s3, s7, s34
	s_add_i32 s2, s3, s2
	s_mul_i32 s23, s23, s34
	s_add_i32 s2, s2, s23
	s_mul_i32 s7, s7, s34
	s_mul_hi_u32 s23, s30, s7
	s_mul_i32 s31, s30, s7
	s_mul_i32 s36, s34, s2
	s_mul_hi_u32 s7, s34, s7
	s_mul_hi_u32 s35, s34, s2
	s_add_u32 s7, s7, s36
	s_addc_u32 s35, 0, s35
	s_add_u32 s7, s7, s31
	s_mul_hi_u32 s3, s30, s2
	s_addc_u32 s7, s35, s23
	s_addc_u32 s3, s3, 0
	s_mul_i32 s2, s30, s2
	s_add_u32 s2, s7, s2
	s_addc_u32 s7, 0, s3
	s_add_u32 s23, s34, s2
	s_cselect_b64 s[2:3], -1, 0
	v_ashrrev_i32_e32 v1, 31, v4
	s_cmp_lg_u64 s[2:3], 0
	v_add_co_u32_e32 v3, vcc, v3, v1
	s_addc_u32 s7, s30, s7
	v_xor_b32_e32 v9, v3, v1
	v_addc_co_u32_e32 v6, vcc, v4, v1, vcc
	v_mad_u64_u32 v[3:4], s[2:3], v9, s7, 0
	v_mul_hi_u32 v7, v9, s23
	v_xor_b32_e32 v10, v6, v1
	v_xor_b32_e32 v1, s6, v1
	v_add_co_u32_e32 v11, vcc, v7, v3
	v_addc_co_u32_e32 v12, vcc, 0, v4, vcc
	v_mad_u64_u32 v[3:4], s[2:3], v10, s23, 0
	v_mad_u64_u32 v[6:7], s[2:3], v10, s7, 0
	v_add_co_u32_e32 v3, vcc, v11, v3
	v_addc_co_u32_e32 v3, vcc, v12, v4, vcc
	v_addc_co_u32_e32 v4, vcc, 0, v7, vcc
	v_add_co_u32_e32 v6, vcc, v3, v6
	v_addc_co_u32_e32 v7, vcc, 0, v4, vcc
	v_mul_lo_u32 v11, s9, v6
	v_mul_lo_u32 v12, s8, v7
	v_mad_u64_u32 v[3:4], s[2:3], s8, v6, 0
	v_add3_u32 v4, v4, v12, v11
	v_sub_u32_e32 v11, v10, v4
	v_mov_b32_e32 v12, s9
	v_sub_co_u32_e32 v3, vcc, v9, v3
	v_subb_co_u32_e64 v9, s[2:3], v11, v12, vcc
	v_subrev_co_u32_e64 v11, s[2:3], s8, v3
	v_subbrev_co_u32_e64 v9, s[2:3], 0, v9, s[2:3]
	v_cmp_le_u32_e64 s[2:3], s9, v9
	v_cndmask_b32_e64 v12, 0, -1, s[2:3]
	v_cmp_le_u32_e64 s[2:3], s8, v11
	v_cndmask_b32_e64 v11, 0, -1, s[2:3]
	v_cmp_eq_u32_e64 s[2:3], s9, v9
	v_cndmask_b32_e64 v9, v12, v11, s[2:3]
	v_add_co_u32_e64 v11, s[2:3], 2, v6
	v_subb_co_u32_e32 v4, vcc, v10, v4, vcc
	v_addc_co_u32_e64 v12, s[2:3], 0, v7, s[2:3]
	v_cmp_le_u32_e32 vcc, s9, v4
	v_add_co_u32_e64 v13, s[2:3], 1, v6
	v_cndmask_b32_e64 v10, 0, -1, vcc
	v_cmp_le_u32_e32 vcc, s8, v3
	v_addc_co_u32_e64 v14, s[2:3], 0, v7, s[2:3]
	v_cndmask_b32_e64 v3, 0, -1, vcc
	v_cmp_eq_u32_e32 vcc, s9, v4
	v_cmp_ne_u32_e64 s[2:3], 0, v9
	v_cndmask_b32_e32 v3, v10, v3, vcc
	v_cmp_ne_u32_e32 vcc, 0, v3
	v_cndmask_b32_e64 v4, v13, v11, s[2:3]
	v_cndmask_b32_e64 v9, v14, v12, s[2:3]
	v_cndmask_b32_e32 v4, v6, v4, vcc
	v_cndmask_b32_e32 v3, v7, v9, vcc
	v_xor_b32_e32 v4, v4, v1
	v_xor_b32_e32 v3, v3, v1
	v_sub_co_u32_e32 v6, vcc, v4, v1
	v_subb_co_u32_e32 v7, vcc, v3, v1, vcc
                                        ; implicit-def: $vgpr3_vgpr4
.LBB3_18:                               ;   in Loop: Header=BB3_12 Depth=1
	s_andn2_saveexec_b64 s[2:3], s[4:5]
	s_cbranch_execz .LBB3_20
; %bb.19:                               ;   in Loop: Header=BB3_12 Depth=1
	s_sub_i32 s4, 0, s33
	v_mul_lo_u32 v1, s4, v17
	v_mul_hi_u32 v1, v17, v1
	v_add_u32_e32 v1, v17, v1
	v_mul_hi_u32 v1, v3, v1
	v_mul_lo_u32 v4, v1, s33
	v_add_u32_e32 v6, 1, v1
	v_sub_u32_e32 v3, v3, v4
	v_subrev_u32_e32 v4, s33, v3
	v_cmp_le_u32_e32 vcc, s33, v3
	v_cndmask_b32_e32 v3, v3, v4, vcc
	v_cndmask_b32_e32 v1, v1, v6, vcc
	v_add_u32_e32 v4, 1, v1
	v_cmp_le_u32_e32 vcc, s33, v3
	v_cndmask_b32_e32 v1, v1, v4, vcc
	v_mov_b32_e32 v7, v2
	v_mov_b32_e32 v6, v1
.LBB3_20:                               ;   in Loop: Header=BB3_12 Depth=1
	s_or_b64 exec, exec, s[2:3]
	v_add_co_u32_e32 v1, vcc, 1, v16
	v_addc_co_u32_e32 v3, vcc, 0, v8, vcc
	v_mul_lo_u32 v8, v1, s52
	v_mul_lo_u32 v9, v3, s53
	v_mad_u64_u32 v[3:4], s[2:3], v1, s53, -1
	v_add3_u32 v4, v9, v4, v8
	v_or_b32_e32 v9, s19, v4
	v_mov_b32_e32 v8, v2
	v_cmp_ne_u64_e32 vcc, 0, v[8:9]
                                        ; implicit-def: $vgpr8_vgpr9
	s_and_saveexec_b64 s[2:3], vcc
	s_xor_b64 s[4:5], exec, s[2:3]
	s_cbranch_execnz .LBB3_23
; %bb.21:                               ;   in Loop: Header=BB3_12 Depth=1
	s_andn2_saveexec_b64 s[2:3], s[4:5]
	s_cbranch_execnz .LBB3_24
.LBB3_22:                               ;   in Loop: Header=BB3_12 Depth=1
	s_or_b64 exec, exec, s[2:3]
	s_and_saveexec_b64 s[30:31], s[0:1]
	s_cbranch_execz .LBB3_11
	s_branch .LBB3_25
.LBB3_23:                               ;   in Loop: Header=BB3_12 Depth=1
	s_ashr_i32 s6, s19, 31
	s_add_u32 s2, s33, s6
	s_mov_b32 s7, s6
	s_addc_u32 s3, s19, s6
	s_xor_b64 s[8:9], s[2:3], s[6:7]
	v_cvt_f32_u32_e32 v1, s8
	v_cvt_f32_u32_e32 v8, s9
	s_sub_u32 s7, 0, s8
	s_subb_u32 s23, 0, s9
	v_mac_f32_e32 v1, 0x4f800000, v8
	v_rcp_f32_e32 v1, v1
	v_mul_f32_e32 v1, 0x5f7ffffc, v1
	v_mul_f32_e32 v8, 0x2f800000, v1
	v_trunc_f32_e32 v8, v8
	v_mac_f32_e32 v1, 0xcf800000, v8
	v_cvt_u32_f32_e32 v8, v8
	v_cvt_u32_f32_e32 v1, v1
	v_readfirstlane_b32 s30, v8
	v_readfirstlane_b32 s2, v1
	s_mul_i32 s3, s7, s30
	s_mul_hi_u32 s34, s7, s2
	s_mul_i32 s31, s23, s2
	s_add_i32 s3, s34, s3
	s_add_i32 s3, s3, s31
	s_mul_i32 s35, s7, s2
	s_mul_i32 s34, s2, s3
	s_mul_hi_u32 s36, s2, s35
	s_mul_hi_u32 s31, s2, s3
	s_add_u32 s34, s36, s34
	s_addc_u32 s31, 0, s31
	s_mul_hi_u32 s37, s30, s35
	s_mul_i32 s35, s30, s35
	s_add_u32 s34, s34, s35
	s_mul_hi_u32 s36, s30, s3
	s_addc_u32 s31, s31, s37
	s_addc_u32 s34, s36, 0
	s_mul_i32 s3, s30, s3
	s_add_u32 s3, s31, s3
	s_addc_u32 s31, 0, s34
	s_add_u32 s34, s2, s3
	s_cselect_b64 s[2:3], -1, 0
	s_cmp_lg_u64 s[2:3], 0
	s_addc_u32 s30, s30, s31
	s_mul_i32 s2, s7, s30
	s_mul_hi_u32 s3, s7, s34
	s_add_i32 s2, s3, s2
	s_mul_i32 s23, s23, s34
	s_add_i32 s2, s2, s23
	s_mul_i32 s7, s7, s34
	s_mul_hi_u32 s23, s30, s7
	s_mul_i32 s31, s30, s7
	s_mul_i32 s36, s34, s2
	s_mul_hi_u32 s7, s34, s7
	s_mul_hi_u32 s35, s34, s2
	s_add_u32 s7, s7, s36
	s_addc_u32 s35, 0, s35
	s_add_u32 s7, s7, s31
	s_mul_hi_u32 s3, s30, s2
	s_addc_u32 s7, s35, s23
	s_addc_u32 s3, s3, 0
	s_mul_i32 s2, s30, s2
	s_add_u32 s2, s7, s2
	s_addc_u32 s7, 0, s3
	s_add_u32 s23, s34, s2
	s_cselect_b64 s[2:3], -1, 0
	v_ashrrev_i32_e32 v1, 31, v4
	s_cmp_lg_u64 s[2:3], 0
	v_add_co_u32_e32 v3, vcc, v3, v1
	s_addc_u32 s7, s30, s7
	v_xor_b32_e32 v10, v3, v1
	v_addc_co_u32_e32 v8, vcc, v4, v1, vcc
	v_mad_u64_u32 v[3:4], s[2:3], v10, s7, 0
	v_mul_hi_u32 v9, v10, s23
	v_xor_b32_e32 v11, v8, v1
	v_xor_b32_e32 v1, s6, v1
	v_add_co_u32_e32 v12, vcc, v9, v3
	v_addc_co_u32_e32 v13, vcc, 0, v4, vcc
	v_mad_u64_u32 v[3:4], s[2:3], v11, s23, 0
	v_mad_u64_u32 v[8:9], s[2:3], v11, s7, 0
	v_add_co_u32_e32 v3, vcc, v12, v3
	v_addc_co_u32_e32 v3, vcc, v13, v4, vcc
	v_addc_co_u32_e32 v4, vcc, 0, v9, vcc
	v_add_co_u32_e32 v8, vcc, v3, v8
	v_addc_co_u32_e32 v3, vcc, 0, v4, vcc
	v_mul_lo_u32 v9, s9, v8
	v_mul_lo_u32 v12, s8, v3
	v_mad_u64_u32 v[3:4], s[2:3], s8, v8, 0
	v_add3_u32 v4, v4, v12, v9
	v_sub_u32_e32 v9, v11, v4
	v_mov_b32_e32 v12, s9
	v_sub_co_u32_e32 v3, vcc, v10, v3
	v_subb_co_u32_e64 v9, s[2:3], v9, v12, vcc
	v_subrev_co_u32_e64 v10, s[2:3], s8, v3
	v_subbrev_co_u32_e64 v9, s[2:3], 0, v9, s[2:3]
	v_cmp_le_u32_e64 s[2:3], s9, v9
	v_subb_co_u32_e32 v4, vcc, v11, v4, vcc
	v_cndmask_b32_e64 v12, 0, -1, s[2:3]
	v_cmp_le_u32_e64 s[2:3], s8, v10
	v_cmp_le_u32_e32 vcc, s9, v4
	v_cndmask_b32_e64 v10, 0, -1, s[2:3]
	v_cmp_eq_u32_e64 s[2:3], s9, v9
	v_cndmask_b32_e64 v11, 0, -1, vcc
	v_cmp_le_u32_e32 vcc, s8, v3
	v_cndmask_b32_e64 v9, v12, v10, s[2:3]
	v_cndmask_b32_e64 v3, 0, -1, vcc
	v_cmp_eq_u32_e32 vcc, s9, v4
	v_add_co_u32_e64 v10, s[2:3], 2, v8
	v_add_co_u32_e64 v12, s[2:3], 1, v8
	v_cndmask_b32_e32 v3, v11, v3, vcc
	v_cmp_ne_u32_e32 vcc, 0, v9
	v_cndmask_b32_e32 v4, v12, v10, vcc
	v_cmp_ne_u32_e32 vcc, 0, v3
	v_cndmask_b32_e32 v3, v8, v4, vcc
	v_xor_b32_e32 v3, v3, v1
	v_sub_co_u32_e32 v8, vcc, v3, v1
                                        ; implicit-def: $vgpr3_vgpr4
	s_andn2_saveexec_b64 s[2:3], s[4:5]
	s_cbranch_execz .LBB3_22
.LBB3_24:                               ;   in Loop: Header=BB3_12 Depth=1
	s_sub_i32 s4, 0, s33
	v_mul_lo_u32 v1, s4, v17
	v_mul_hi_u32 v1, v17, v1
	v_add_u32_e32 v1, v17, v1
	v_mul_hi_u32 v1, v3, v1
	v_mul_lo_u32 v4, v1, s33
	v_add_u32_e32 v8, 1, v1
	v_sub_u32_e32 v3, v3, v4
	v_subrev_u32_e32 v4, s33, v3
	v_cmp_le_u32_e32 vcc, s33, v3
	v_cndmask_b32_e32 v3, v3, v4, vcc
	v_cndmask_b32_e32 v1, v1, v8, vcc
	v_add_u32_e32 v4, 1, v1
	v_cmp_le_u32_e32 vcc, s33, v3
	v_cndmask_b32_e32 v8, v1, v4, vcc
	s_or_b64 exec, exec, s[2:3]
	s_and_saveexec_b64 s[30:31], s[0:1]
	s_cbranch_execz .LBB3_11
.LBB3_25:                               ;   in Loop: Header=BB3_12 Depth=1
	v_mad_u64_u32 v[3:4], s[2:3], v5, s53, v[6:7]
	v_mul_lo_u32 v7, v16, s25
	v_add_u32_e32 v5, s56, v5
	v_sub_u32_e32 v1, v8, v3
	v_add_u32_e32 v18, 1, v1
	v_ashrrev_i32_e32 v8, 31, v7
	v_lshlrev_b64 v[9:10], 1, v[7:8]
	v_mov_b32_e32 v1, s47
	v_add_co_u32_e32 v19, vcc, s46, v9
	v_lshlrev_b64 v[7:8], 3, v[7:8]
	v_addc_co_u32_e32 v20, vcc, v1, v10, vcc
	v_mov_b32_e32 v1, s49
	v_add_co_u32_e32 v21, vcc, s48, v7
	v_addc_co_u32_e32 v22, vcc, v1, v8, vcc
	v_mov_b32_e32 v7, s20
	v_ashrrev_i32_e32 v4, 31, v3
	v_add_u32_e32 v1, s55, v3
	v_mov_b32_e32 v8, s21
	v_mul_lo_u32 v23, v1, s18
	v_mul_lo_u32 v1, s12, v4
	;; [unrolled: 1-line block ×3, first 2 shown]
	v_mad_u64_u32 v[3:4], s[4:5], s12, v3, v[7:8]
	v_mad_u64_u32 v[5:6], s[4:5], s17, v5, v[6:7]
	v_cmp_lt_i32_e64 s[2:3], 0, v18
	v_add3_u32 v4, v9, v4, v1
	s_mov_b64 s[34:35], 0
	v_mov_b32_e32 v1, v0
	s_branch .LBB3_28
.LBB3_26:                               ;   in Loop: Header=BB3_28 Depth=2
	v_mov_b32_e32 v7, 0xffffff80
.LBB3_27:                               ;   in Loop: Header=BB3_28 Depth=2
	v_lshlrev_b64 v[10:11], 1, v[1:2]
	v_lshlrev_b64 v[12:13], 3, v[1:2]
	v_add_co_u32_e32 v10, vcc, v19, v10
	v_addc_co_u32_e32 v11, vcc, v20, v11, vcc
	v_add_co_u32_e32 v12, vcc, v21, v12
	v_addc_co_u32_e32 v13, vcc, v22, v13, vcc
	v_add_u32_e32 v1, s51, v1
	v_cmp_le_i32_e32 vcc, s25, v1
	s_or_b64 s[34:35], vcc, s[34:35]
	global_store_short v[10:11], v7, off
	global_store_dwordx2 v[12:13], v[8:9], off
	s_andn2_b64 exec, exec, s[34:35]
	s_cbranch_execz .LBB3_11
.LBB3_28:                               ;   Parent Loop BB3_12 Depth=1
                                        ; =>  This Loop Header: Depth=2
                                        ;       Child Loop BB3_44 Depth 3
                                        ;         Child Loop BB3_47 Depth 4
                                        ;           Child Loop BB3_49 Depth 5
	s_mov_b32 s23, s44
	s_cmp_lg_u64 s[22:23], 0
	s_cselect_b64 s[4:5], -1, 0
                                        ; implicit-def: $vgpr6_vgpr7
	s_and_saveexec_b64 s[6:7], s[4:5]
	s_xor_b64 s[6:7], exec, s[6:7]
	s_cbranch_execz .LBB3_30
; %bb.29:                               ;   in Loop: Header=BB3_28 Depth=2
	s_ashr_i32 s8, s44, 31
	s_add_u32 s4, s45, s8
	s_mov_b32 s9, s8
	s_addc_u32 s5, s44, s8
	s_xor_b64 s[36:37], s[4:5], s[8:9]
	v_cvt_f32_u32_e32 v6, s36
	v_cvt_f32_u32_e32 v7, s37
	s_sub_u32 s9, 0, s36
	s_subb_u32 s23, 0, s37
	v_add_co_u32_e32 v10, vcc, 0, v1
	v_mac_f32_e32 v6, 0x4f800000, v7
	v_rcp_f32_e32 v6, v6
	v_mul_f32_e32 v6, 0x5f7ffffc, v6
	v_mul_f32_e32 v7, 0x2f800000, v6
	v_trunc_f32_e32 v7, v7
	v_mac_f32_e32 v6, 0xcf800000, v7
	v_cvt_u32_f32_e32 v7, v7
	v_cvt_u32_f32_e32 v6, v6
	v_readfirstlane_b32 s38, v7
	v_readfirstlane_b32 s4, v6
	s_mul_i32 s5, s9, s38
	s_mul_hi_u32 s40, s9, s4
	s_mul_i32 s39, s23, s4
	s_add_i32 s5, s40, s5
	s_add_i32 s5, s5, s39
	s_mul_i32 s41, s9, s4
	s_mul_i32 s40, s4, s5
	s_mul_hi_u32 s42, s4, s41
	s_mul_hi_u32 s39, s4, s5
	s_add_u32 s40, s42, s40
	s_addc_u32 s39, 0, s39
	s_mul_hi_u32 s43, s38, s41
	s_mul_i32 s41, s38, s41
	s_add_u32 s40, s40, s41
	s_mul_hi_u32 s42, s38, s5
	s_addc_u32 s39, s39, s43
	s_addc_u32 s40, s42, 0
	s_mul_i32 s5, s38, s5
	s_add_u32 s5, s39, s5
	s_addc_u32 s39, 0, s40
	s_add_u32 s40, s4, s5
	s_cselect_b64 s[4:5], -1, 0
	s_cmp_lg_u64 s[4:5], 0
	s_addc_u32 s38, s38, s39
	s_mul_i32 s4, s9, s38
	s_mul_hi_u32 s5, s9, s40
	s_add_i32 s4, s5, s4
	s_mul_i32 s23, s23, s40
	s_add_i32 s4, s4, s23
	s_mul_i32 s9, s9, s40
	s_mul_hi_u32 s23, s38, s9
	s_mul_i32 s39, s38, s9
	s_mul_i32 s42, s40, s4
	s_mul_hi_u32 s9, s40, s9
	s_mul_hi_u32 s41, s40, s4
	s_add_u32 s9, s9, s42
	s_addc_u32 s41, 0, s41
	s_add_u32 s9, s9, s39
	s_mul_hi_u32 s5, s38, s4
	s_addc_u32 s9, s41, s23
	s_addc_u32 s5, s5, 0
	s_mul_i32 s4, s38, s4
	s_add_u32 s4, s9, s4
	s_addc_u32 s9, 0, s5
	s_add_u32 s23, s40, s4
	s_cselect_b64 s[4:5], -1, 0
	s_cmp_lg_u64 s[4:5], 0
	s_addc_u32 s9, s38, s9
	v_mad_u64_u32 v[6:7], s[4:5], v10, s9, 0
	v_mul_hi_u32 v8, v10, s23
	v_addc_co_u32_e64 v11, s[4:5], 0, 0, vcc
	v_add_co_u32_e32 v12, vcc, v8, v6
	v_addc_co_u32_e32 v13, vcc, 0, v7, vcc
	v_mad_u64_u32 v[6:7], s[4:5], v11, s23, 0
	v_mad_u64_u32 v[8:9], s[4:5], v11, s9, 0
	v_add_co_u32_e32 v6, vcc, v12, v6
	v_addc_co_u32_e32 v6, vcc, v13, v7, vcc
	v_addc_co_u32_e32 v7, vcc, 0, v9, vcc
	v_add_co_u32_e32 v8, vcc, v6, v8
	v_addc_co_u32_e32 v9, vcc, 0, v7, vcc
	v_mul_lo_u32 v12, s37, v8
	v_mul_lo_u32 v13, s36, v9
	v_mad_u64_u32 v[6:7], s[4:5], s36, v8, 0
	v_add3_u32 v7, v7, v13, v12
	v_sub_u32_e32 v12, v11, v7
	v_mov_b32_e32 v13, s37
	v_sub_co_u32_e32 v6, vcc, v10, v6
	v_subb_co_u32_e64 v10, s[4:5], v12, v13, vcc
	v_subrev_co_u32_e64 v12, s[4:5], s36, v6
	v_subbrev_co_u32_e64 v10, s[4:5], 0, v10, s[4:5]
	v_cmp_le_u32_e64 s[4:5], s37, v10
	v_cndmask_b32_e64 v13, 0, -1, s[4:5]
	v_cmp_le_u32_e64 s[4:5], s36, v12
	v_cndmask_b32_e64 v12, 0, -1, s[4:5]
	v_cmp_eq_u32_e64 s[4:5], s37, v10
	v_cndmask_b32_e64 v10, v13, v12, s[4:5]
	v_add_co_u32_e64 v12, s[4:5], 2, v8
	v_subb_co_u32_e32 v7, vcc, v11, v7, vcc
	v_addc_co_u32_e64 v13, s[4:5], 0, v9, s[4:5]
	v_cmp_le_u32_e32 vcc, s37, v7
	v_add_co_u32_e64 v14, s[4:5], 1, v8
	v_cndmask_b32_e64 v11, 0, -1, vcc
	v_cmp_le_u32_e32 vcc, s36, v6
	v_addc_co_u32_e64 v15, s[4:5], 0, v9, s[4:5]
	v_cndmask_b32_e64 v6, 0, -1, vcc
	v_cmp_eq_u32_e32 vcc, s37, v7
	v_cmp_ne_u32_e64 s[4:5], 0, v10
	v_cndmask_b32_e32 v6, v11, v6, vcc
	v_cndmask_b32_e64 v10, v15, v13, s[4:5]
	v_cmp_ne_u32_e32 vcc, 0, v6
	v_cndmask_b32_e64 v7, v14, v12, s[4:5]
	v_cndmask_b32_e32 v6, v9, v10, vcc
	v_cndmask_b32_e32 v7, v8, v7, vcc
	v_xor_b32_e32 v8, s8, v6
	v_xor_b32_e32 v6, s8, v7
	v_mov_b32_e32 v7, s8
	v_subrev_co_u32_e32 v6, vcc, s8, v6
	v_subb_co_u32_e32 v7, vcc, v8, v7, vcc
.LBB3_30:                               ;   in Loop: Header=BB3_28 Depth=2
	s_andn2_saveexec_b64 s[4:5], s[6:7]
	s_cbranch_execz .LBB3_32
; %bb.31:                               ;   in Loop: Header=BB3_28 Depth=2
	v_cvt_f32_u32_e32 v6, s45
	s_sub_i32 s6, 0, s45
	v_rcp_iflag_f32_e32 v6, v6
	v_mul_f32_e32 v6, 0x4f7ffffe, v6
	v_cvt_u32_f32_e32 v6, v6
	v_mul_lo_u32 v7, s6, v6
	v_mul_hi_u32 v7, v6, v7
	v_add_u32_e32 v6, v6, v7
	v_mul_hi_u32 v6, v1, v6
	v_mul_lo_u32 v7, v6, s45
	v_add_u32_e32 v8, 1, v6
	v_sub_u32_e32 v7, v1, v7
	v_subrev_u32_e32 v9, s45, v7
	v_cmp_le_u32_e32 vcc, s45, v7
	v_cndmask_b32_e32 v7, v7, v9, vcc
	v_cndmask_b32_e32 v6, v6, v8, vcc
	v_add_u32_e32 v8, 1, v6
	v_cmp_le_u32_e32 vcc, s45, v7
	v_cndmask_b32_e32 v6, v6, v8, vcc
	v_mov_b32_e32 v7, v2
.LBB3_32:                               ;   in Loop: Header=BB3_28 Depth=2
	s_or_b64 exec, exec, s[4:5]
	v_mul_lo_u32 v9, v7, s45
	v_mul_lo_u32 v10, v6, s44
	v_mad_u64_u32 v[7:8], s[4:5], v6, s45, 0
	v_add3_u32 v8, v8, v10, v9
	v_sub_co_u32_e32 v7, vcc, v1, v7
	v_subb_co_u32_e32 v8, vcc, 0, v8, vcc
	v_mul_lo_u32 v8, v8, s18
	v_mul_lo_u32 v11, v7, s54
	v_mad_u64_u32 v[9:10], s[4:5], v7, s18, 0
	v_mov_b32_e32 v7, v2
	v_add3_u32 v10, v10, v11, v8
	v_or_b32_e32 v8, s44, v10
	v_cmp_ne_u64_e32 vcc, 0, v[7:8]
                                        ; implicit-def: $vgpr7_vgpr8
	s_and_saveexec_b64 s[4:5], vcc
	s_xor_b64 s[6:7], exec, s[4:5]
	s_cbranch_execz .LBB3_34
; %bb.33:                               ;   in Loop: Header=BB3_28 Depth=2
	s_ashr_i32 s8, s44, 31
	s_add_u32 s4, s45, s8
	s_mov_b32 s9, s8
	s_addc_u32 s5, s44, s8
	s_xor_b64 s[36:37], s[4:5], s[8:9]
	v_cvt_f32_u32_e32 v7, s36
	v_cvt_f32_u32_e32 v8, s37
	s_sub_u32 s9, 0, s36
	s_subb_u32 s23, 0, s37
	v_ashrrev_i32_e32 v11, 31, v10
	v_mac_f32_e32 v7, 0x4f800000, v8
	v_rcp_f32_e32 v7, v7
	v_mul_f32_e32 v7, 0x5f7ffffc, v7
	v_mul_f32_e32 v8, 0x2f800000, v7
	v_trunc_f32_e32 v8, v8
	v_mac_f32_e32 v7, 0xcf800000, v8
	v_cvt_u32_f32_e32 v8, v8
	v_cvt_u32_f32_e32 v7, v7
	v_readfirstlane_b32 s38, v8
	v_readfirstlane_b32 s4, v7
	s_mul_i32 s5, s9, s38
	s_mul_hi_u32 s40, s9, s4
	s_mul_i32 s39, s23, s4
	s_add_i32 s5, s40, s5
	s_add_i32 s5, s5, s39
	s_mul_i32 s41, s9, s4
	s_mul_i32 s40, s4, s5
	s_mul_hi_u32 s42, s4, s41
	s_mul_hi_u32 s39, s4, s5
	s_add_u32 s40, s42, s40
	s_addc_u32 s39, 0, s39
	s_mul_hi_u32 s43, s38, s41
	s_mul_i32 s41, s38, s41
	s_add_u32 s40, s40, s41
	s_mul_hi_u32 s42, s38, s5
	s_addc_u32 s39, s39, s43
	s_addc_u32 s40, s42, 0
	s_mul_i32 s5, s38, s5
	s_add_u32 s5, s39, s5
	s_addc_u32 s39, 0, s40
	s_add_u32 s40, s4, s5
	s_cselect_b64 s[4:5], -1, 0
	s_cmp_lg_u64 s[4:5], 0
	s_addc_u32 s38, s38, s39
	s_mul_i32 s4, s9, s38
	s_mul_hi_u32 s5, s9, s40
	s_add_i32 s4, s5, s4
	s_mul_i32 s23, s23, s40
	s_add_i32 s4, s4, s23
	s_mul_i32 s9, s9, s40
	s_mul_hi_u32 s23, s38, s9
	s_mul_i32 s39, s38, s9
	s_mul_i32 s42, s40, s4
	s_mul_hi_u32 s9, s40, s9
	s_mul_hi_u32 s41, s40, s4
	s_add_u32 s9, s9, s42
	s_addc_u32 s41, 0, s41
	s_add_u32 s9, s9, s39
	s_mul_hi_u32 s5, s38, s4
	s_addc_u32 s9, s41, s23
	s_addc_u32 s5, s5, 0
	s_mul_i32 s4, s38, s4
	s_add_u32 s4, s9, s4
	s_addc_u32 s9, 0, s5
	s_add_u32 s23, s40, s4
	s_cselect_b64 s[4:5], -1, 0
	s_cmp_lg_u64 s[4:5], 0
	v_add_co_u32_e32 v7, vcc, v9, v11
	s_addc_u32 s9, s38, s9
	v_xor_b32_e32 v12, v7, v11
	v_addc_co_u32_e32 v9, vcc, v10, v11, vcc
	v_mad_u64_u32 v[7:8], s[4:5], v12, s9, 0
	v_mul_hi_u32 v10, v12, s23
	v_xor_b32_e32 v13, v9, v11
	v_add_co_u32_e32 v14, vcc, v10, v7
	v_addc_co_u32_e32 v15, vcc, 0, v8, vcc
	v_mad_u64_u32 v[7:8], s[4:5], v13, s23, 0
	v_mad_u64_u32 v[9:10], s[4:5], v13, s9, 0
	v_add_co_u32_e32 v7, vcc, v14, v7
	v_addc_co_u32_e32 v7, vcc, v15, v8, vcc
	v_addc_co_u32_e32 v8, vcc, 0, v10, vcc
	v_add_co_u32_e32 v9, vcc, v7, v9
	v_addc_co_u32_e32 v10, vcc, 0, v8, vcc
	v_mul_lo_u32 v14, s37, v9
	v_mul_lo_u32 v15, s36, v10
	v_mad_u64_u32 v[7:8], s[4:5], s36, v9, 0
	v_add3_u32 v8, v8, v15, v14
	v_sub_u32_e32 v14, v13, v8
	v_mov_b32_e32 v15, s37
	v_sub_co_u32_e32 v7, vcc, v12, v7
	v_subb_co_u32_e64 v12, s[4:5], v14, v15, vcc
	v_subrev_co_u32_e64 v14, s[4:5], s36, v7
	v_subbrev_co_u32_e64 v12, s[4:5], 0, v12, s[4:5]
	v_cmp_le_u32_e64 s[4:5], s37, v12
	v_cndmask_b32_e64 v15, 0, -1, s[4:5]
	v_cmp_le_u32_e64 s[4:5], s36, v14
	v_cndmask_b32_e64 v14, 0, -1, s[4:5]
	v_cmp_eq_u32_e64 s[4:5], s37, v12
	v_cndmask_b32_e64 v12, v15, v14, s[4:5]
	v_add_co_u32_e64 v14, s[4:5], 2, v9
	v_subb_co_u32_e32 v8, vcc, v13, v8, vcc
	v_addc_co_u32_e64 v15, s[4:5], 0, v10, s[4:5]
	v_cmp_le_u32_e32 vcc, s37, v8
	v_add_co_u32_e64 v24, s[4:5], 1, v9
	v_cndmask_b32_e64 v13, 0, -1, vcc
	v_cmp_le_u32_e32 vcc, s36, v7
	v_addc_co_u32_e64 v25, s[4:5], 0, v10, s[4:5]
	v_cndmask_b32_e64 v7, 0, -1, vcc
	v_cmp_eq_u32_e32 vcc, s37, v8
	v_cmp_ne_u32_e64 s[4:5], 0, v12
	v_cndmask_b32_e32 v7, v13, v7, vcc
	v_cndmask_b32_e64 v12, v25, v15, s[4:5]
	v_cmp_ne_u32_e32 vcc, 0, v7
	v_cndmask_b32_e64 v8, v24, v14, s[4:5]
	v_cndmask_b32_e32 v7, v10, v12, vcc
	v_cndmask_b32_e32 v8, v9, v8, vcc
	v_xor_b32_e32 v9, s8, v11
	v_xor_b32_e32 v10, v7, v9
	;; [unrolled: 1-line block ×3, first 2 shown]
	v_sub_co_u32_e32 v7, vcc, v7, v9
	v_subb_co_u32_e32 v8, vcc, v10, v9, vcc
                                        ; implicit-def: $vgpr9_vgpr10
.LBB3_34:                               ;   in Loop: Header=BB3_28 Depth=2
	s_andn2_saveexec_b64 s[4:5], s[6:7]
	s_cbranch_execz .LBB3_36
; %bb.35:                               ;   in Loop: Header=BB3_28 Depth=2
	v_cvt_f32_u32_e32 v7, s45
	s_sub_i32 s6, 0, s45
	v_rcp_iflag_f32_e32 v7, v7
	v_mul_f32_e32 v7, 0x4f7ffffe, v7
	v_cvt_u32_f32_e32 v7, v7
	v_mul_lo_u32 v8, s6, v7
	v_mul_hi_u32 v8, v7, v8
	v_add_u32_e32 v7, v7, v8
	v_mul_hi_u32 v7, v9, v7
	v_mul_lo_u32 v8, v7, s45
	v_add_u32_e32 v10, 1, v7
	v_sub_u32_e32 v8, v9, v8
	v_subrev_u32_e32 v9, s45, v8
	v_cmp_le_u32_e32 vcc, s45, v8
	v_cndmask_b32_e32 v8, v8, v9, vcc
	v_cndmask_b32_e32 v7, v7, v10, vcc
	v_add_u32_e32 v9, 1, v7
	v_cmp_le_u32_e32 vcc, s45, v8
	v_cndmask_b32_e32 v7, v7, v9, vcc
	v_mov_b32_e32 v8, v2
.LBB3_36:                               ;   in Loop: Header=BB3_28 Depth=2
	s_or_b64 exec, exec, s[4:5]
	v_add_u32_e32 v11, 1, v1
	v_mad_u64_u32 v[9:10], s[4:5], v11, s18, -1
	v_mad_u64_u32 v[10:11], s[4:5], v11, s54, v[10:11]
	v_mov_b32_e32 v11, v2
	v_or_b32_e32 v12, s44, v10
	v_cmp_ne_u64_e32 vcc, 0, v[11:12]
                                        ; implicit-def: $vgpr11_vgpr12
	s_and_saveexec_b64 s[4:5], vcc
	s_xor_b64 s[6:7], exec, s[4:5]
	s_cbranch_execz .LBB3_38
; %bb.37:                               ;   in Loop: Header=BB3_28 Depth=2
	s_ashr_i32 s8, s44, 31
	s_add_u32 s4, s45, s8
	s_mov_b32 s9, s8
	s_addc_u32 s5, s44, s8
	s_xor_b64 s[36:37], s[4:5], s[8:9]
	v_cvt_f32_u32_e32 v11, s36
	v_cvt_f32_u32_e32 v12, s37
	s_sub_u32 s9, 0, s36
	s_subb_u32 s23, 0, s37
	v_ashrrev_i32_e32 v13, 31, v10
	v_mac_f32_e32 v11, 0x4f800000, v12
	v_rcp_f32_e32 v11, v11
	v_add_co_u32_e32 v9, vcc, v9, v13
	v_xor_b32_e32 v14, v9, v13
	v_mul_f32_e32 v11, 0x5f7ffffc, v11
	v_mul_f32_e32 v12, 0x2f800000, v11
	v_trunc_f32_e32 v12, v12
	v_mac_f32_e32 v11, 0xcf800000, v12
	v_cvt_u32_f32_e32 v12, v12
	v_cvt_u32_f32_e32 v11, v11
	v_readfirstlane_b32 s38, v12
	v_readfirstlane_b32 s4, v11
	s_mul_i32 s5, s9, s38
	s_mul_hi_u32 s40, s9, s4
	s_mul_i32 s39, s23, s4
	s_add_i32 s5, s40, s5
	s_add_i32 s5, s5, s39
	s_mul_i32 s41, s9, s4
	s_mul_i32 s40, s4, s5
	s_mul_hi_u32 s42, s4, s41
	s_mul_hi_u32 s39, s4, s5
	s_add_u32 s40, s42, s40
	s_addc_u32 s39, 0, s39
	s_mul_hi_u32 s43, s38, s41
	s_mul_i32 s41, s38, s41
	s_add_u32 s40, s40, s41
	s_mul_hi_u32 s42, s38, s5
	s_addc_u32 s39, s39, s43
	s_addc_u32 s40, s42, 0
	s_mul_i32 s5, s38, s5
	s_add_u32 s5, s39, s5
	s_addc_u32 s39, 0, s40
	s_add_u32 s40, s4, s5
	s_cselect_b64 s[4:5], -1, 0
	s_cmp_lg_u64 s[4:5], 0
	s_addc_u32 s38, s38, s39
	s_mul_i32 s4, s9, s38
	s_mul_hi_u32 s5, s9, s40
	s_add_i32 s4, s5, s4
	s_mul_i32 s23, s23, s40
	s_add_i32 s4, s4, s23
	s_mul_i32 s9, s9, s40
	s_mul_hi_u32 s23, s38, s9
	s_mul_i32 s39, s38, s9
	s_mul_i32 s42, s40, s4
	s_mul_hi_u32 s9, s40, s9
	s_mul_hi_u32 s41, s40, s4
	s_add_u32 s9, s9, s42
	s_addc_u32 s41, 0, s41
	s_add_u32 s9, s9, s39
	s_mul_hi_u32 s5, s38, s4
	s_addc_u32 s9, s41, s23
	s_addc_u32 s5, s5, 0
	s_mul_i32 s4, s38, s4
	s_add_u32 s4, s9, s4
	s_addc_u32 s9, 0, s5
	s_add_u32 s23, s40, s4
	s_cselect_b64 s[4:5], -1, 0
	s_cmp_lg_u64 s[4:5], 0
	s_addc_u32 s9, s38, s9
	v_addc_co_u32_e32 v11, vcc, v10, v13, vcc
	v_mad_u64_u32 v[9:10], s[4:5], v14, s9, 0
	v_mul_hi_u32 v12, v14, s23
	v_xor_b32_e32 v15, v11, v13
	v_add_co_u32_e32 v24, vcc, v12, v9
	v_addc_co_u32_e32 v25, vcc, 0, v10, vcc
	v_mad_u64_u32 v[9:10], s[4:5], v15, s23, 0
	v_mad_u64_u32 v[11:12], s[4:5], v15, s9, 0
	v_add_co_u32_e32 v9, vcc, v24, v9
	v_addc_co_u32_e32 v9, vcc, v25, v10, vcc
	v_addc_co_u32_e32 v10, vcc, 0, v12, vcc
	v_add_co_u32_e32 v11, vcc, v9, v11
	v_addc_co_u32_e32 v9, vcc, 0, v10, vcc
	v_mul_lo_u32 v12, s37, v11
	v_mul_lo_u32 v24, s36, v9
	v_mad_u64_u32 v[9:10], s[4:5], s36, v11, 0
	v_add3_u32 v10, v10, v24, v12
	v_sub_u32_e32 v12, v15, v10
	v_mov_b32_e32 v24, s37
	v_sub_co_u32_e32 v9, vcc, v14, v9
	v_subb_co_u32_e64 v12, s[4:5], v12, v24, vcc
	v_subrev_co_u32_e64 v14, s[4:5], s36, v9
	v_subbrev_co_u32_e64 v12, s[4:5], 0, v12, s[4:5]
	v_cmp_le_u32_e64 s[4:5], s37, v12
	v_subb_co_u32_e32 v10, vcc, v15, v10, vcc
	v_cndmask_b32_e64 v24, 0, -1, s[4:5]
	v_cmp_le_u32_e64 s[4:5], s36, v14
	v_cmp_le_u32_e32 vcc, s37, v10
	v_cndmask_b32_e64 v14, 0, -1, s[4:5]
	v_cmp_eq_u32_e64 s[4:5], s37, v12
	v_cndmask_b32_e64 v15, 0, -1, vcc
	v_cmp_le_u32_e32 vcc, s36, v9
	v_cndmask_b32_e64 v12, v24, v14, s[4:5]
	v_cndmask_b32_e64 v9, 0, -1, vcc
	v_cmp_eq_u32_e32 vcc, s37, v10
	v_add_co_u32_e64 v14, s[4:5], 2, v11
	v_add_co_u32_e64 v24, s[4:5], 1, v11
	v_cndmask_b32_e32 v9, v15, v9, vcc
	v_cmp_ne_u32_e32 vcc, 0, v12
	v_cndmask_b32_e32 v10, v24, v14, vcc
	v_cmp_ne_u32_e32 vcc, 0, v9
	v_cndmask_b32_e32 v9, v11, v10, vcc
	v_xor_b32_e32 v10, s8, v13
	v_xor_b32_e32 v9, v9, v10
	v_sub_co_u32_e32 v11, vcc, v9, v10
                                        ; implicit-def: $vgpr9_vgpr10
.LBB3_38:                               ;   in Loop: Header=BB3_28 Depth=2
	s_andn2_saveexec_b64 s[4:5], s[6:7]
	s_cbranch_execz .LBB3_40
; %bb.39:                               ;   in Loop: Header=BB3_28 Depth=2
	v_cvt_f32_u32_e32 v10, s45
	s_sub_i32 s6, 0, s45
	v_rcp_iflag_f32_e32 v10, v10
	v_mul_f32_e32 v10, 0x4f7ffffe, v10
	v_cvt_u32_f32_e32 v10, v10
	v_mul_lo_u32 v11, s6, v10
	v_mul_hi_u32 v11, v10, v11
	v_add_u32_e32 v10, v10, v11
	v_mul_hi_u32 v10, v9, v10
	v_mul_lo_u32 v11, v10, s45
	v_add_u32_e32 v12, 1, v10
	v_sub_u32_e32 v9, v9, v11
	v_subrev_u32_e32 v11, s45, v9
	v_cmp_le_u32_e32 vcc, s45, v9
	v_cndmask_b32_e32 v9, v9, v11, vcc
	v_cndmask_b32_e32 v10, v10, v12, vcc
	v_add_u32_e32 v11, 1, v10
	v_cmp_le_u32_e32 vcc, s45, v9
	v_cndmask_b32_e32 v11, v10, v11, vcc
.LBB3_40:                               ;   in Loop: Header=BB3_28 Depth=2
	s_or_b64 exec, exec, s[4:5]
	v_mad_u64_u32 v[12:13], s[4:5], v6, s18, v[7:8]
	s_andn2_b64 vcc, exec, s[26:27]
	v_add_u32_e32 v8, v23, v12
	v_ashrrev_i32_e32 v9, 31, v8
	s_cbranch_vccnz .LBB3_26
; %bb.41:                               ;   in Loop: Header=BB3_28 Depth=2
	v_sub_u32_e32 v10, v11, v12
	v_ashrrev_i32_e32 v13, 31, v12
	v_add_u32_e32 v24, 1, v10
	v_mad_u64_u32 v[10:11], s[4:5], s14, v12, v[3:4]
	v_mul_lo_u32 v12, s15, v12
	v_mul_lo_u32 v13, s14, v13
	v_add_u32_e32 v6, v5, v6
	v_mad_u64_u32 v[6:7], s[4:5], s18, v6, v[7:8]
	s_mov_b32 s23, 0
	v_cmp_lt_i32_e32 vcc, 0, v24
	v_add3_u32 v11, v12, v11, v13
	v_mov_b32_e32 v7, 0xffffff80
	s_branch .LBB3_44
.LBB3_42:                               ;   in Loop: Header=BB3_44 Depth=3
	s_or_b64 exec, exec, s[38:39]
.LBB3_43:                               ;   in Loop: Header=BB3_44 Depth=3
	s_or_b64 exec, exec, s[36:37]
	s_add_i32 s23, s23, 1
	v_mov_b32_e32 v12, s11
	v_add_co_u32_e64 v10, s[4:5], s10, v10
	v_addc_co_u32_e64 v11, s[4:5], v11, v12, s[4:5]
	s_cmp_lt_i32 s23, s16
	v_add_u32_e32 v6, s57, v6
	s_cbranch_scc0 .LBB3_27
.LBB3_44:                               ;   Parent Loop BB3_12 Depth=1
                                        ;     Parent Loop BB3_28 Depth=2
                                        ; =>    This Loop Header: Depth=3
                                        ;         Child Loop BB3_47 Depth 4
                                        ;           Child Loop BB3_49 Depth 5
	s_and_saveexec_b64 s[36:37], s[2:3]
	s_cbranch_execz .LBB3_43
; %bb.45:                               ;   in Loop: Header=BB3_44 Depth=3
	v_mov_b32_e32 v13, v11
	s_mov_b32 s58, 0
	s_mov_b64 s[38:39], 0
	v_mov_b32_e32 v25, v6
	v_mov_b32_e32 v12, v10
	s_branch .LBB3_47
.LBB3_46:                               ;   in Loop: Header=BB3_47 Depth=4
	s_or_b64 exec, exec, s[40:41]
	v_mov_b32_e32 v14, s13
	v_add_co_u32_e64 v12, s[4:5], s12, v12
	s_add_i32 s58, s58, 1
	v_addc_co_u32_e64 v13, s[4:5], v13, v14, s[4:5]
	v_cmp_ge_i32_e64 s[4:5], s58, v18
	s_or_b64 s[38:39], s[4:5], s[38:39]
	v_add_u32_e32 v25, s18, v25
	s_andn2_b64 exec, exec, s[38:39]
	s_cbranch_execz .LBB3_42
.LBB3_47:                               ;   Parent Loop BB3_12 Depth=1
                                        ;     Parent Loop BB3_28 Depth=2
                                        ;       Parent Loop BB3_44 Depth=3
                                        ; =>      This Loop Header: Depth=4
                                        ;           Child Loop BB3_49 Depth 5
	s_and_saveexec_b64 s[40:41], vcc
	s_cbranch_execz .LBB3_46
; %bb.48:                               ;   in Loop: Header=BB3_47 Depth=4
	v_mov_b32_e32 v15, v13
	s_mov_b32 s59, 0
	s_mov_b64 s[42:43], 0
	v_mov_b32_e32 v14, v12
.LBB3_49:                               ;   Parent Loop BB3_12 Depth=1
                                        ;     Parent Loop BB3_28 Depth=2
                                        ;       Parent Loop BB3_44 Depth=3
                                        ;         Parent Loop BB3_47 Depth=4
                                        ; =>        This Inner Loop Header: Depth=5
	global_load_ushort v26, v[14:15], off
	v_mov_b32_e32 v29, s15
	v_add_co_u32_e64 v14, s[4:5], s14, v14
	v_lshlrev_b32_e32 v27, 16, v7
	v_addc_co_u32_e64 v15, s[4:5], v15, v29, s[4:5]
	v_add_u32_e32 v28, s59, v25
	s_add_i32 s59, s59, 1
	v_ashrrev_i32_e32 v30, 31, v28
	v_cmp_ge_i32_e64 s[4:5], s59, v24
	s_waitcnt vmcnt(0)
	v_lshlrev_b32_e32 v29, 16, v26
	v_cmp_gt_f32_e64 s[6:7], v29, v27
	v_cmp_u_f32_e64 s[8:9], v29, v29
	s_or_b64 s[6:7], s[6:7], s[8:9]
	v_cndmask_b32_e64 v7, v7, v26, s[6:7]
	v_cndmask_b32_e64 v9, v9, v30, s[6:7]
	s_or_b64 s[42:43], s[4:5], s[42:43]
	v_cndmask_b32_e64 v8, v8, v28, s[6:7]
	s_andn2_b64 exec, exec, s[42:43]
	s_cbranch_execnz .LBB3_49
; %bb.50:                               ;   in Loop: Header=BB3_47 Depth=4
	s_or_b64 exec, exec, s[42:43]
	s_branch .LBB3_46
.LBB3_51:
	s_endpgm
.LBB3_52:
                                        ; implicit-def: $sgpr28_sgpr29
	s_branch .LBB3_2
.LBB3_53:
                                        ; implicit-def: $sgpr30_sgpr31
	s_branch .LBB3_5
.LBB3_54:
                                        ; implicit-def: $sgpr26_sgpr27
	s_load_dword s3, s[4:5], 0x64
	s_andn2_b64 vcc, exec, s[10:11]
	s_cbranch_vccz .LBB3_8
	s_branch .LBB3_9
	.section	.rodata,"a",@progbits
	.p2align	6, 0x0
	.amdhsa_kernel _ZN2at6native12_GLOBAL__N_115adaptivemaxpoolIN3c108BFloat16EEEvPKT_PS5_Pliiiiiilllll
		.amdhsa_group_segment_fixed_size 0
		.amdhsa_private_segment_fixed_size 0
		.amdhsa_kernarg_size 344
		.amdhsa_user_sgpr_count 6
		.amdhsa_user_sgpr_private_segment_buffer 1
		.amdhsa_user_sgpr_dispatch_ptr 0
		.amdhsa_user_sgpr_queue_ptr 0
		.amdhsa_user_sgpr_kernarg_segment_ptr 1
		.amdhsa_user_sgpr_dispatch_id 0
		.amdhsa_user_sgpr_flat_scratch_init 0
		.amdhsa_user_sgpr_private_segment_size 0
		.amdhsa_uses_dynamic_stack 0
		.amdhsa_system_sgpr_private_segment_wavefront_offset 0
		.amdhsa_system_sgpr_workgroup_id_x 1
		.amdhsa_system_sgpr_workgroup_id_y 1
		.amdhsa_system_sgpr_workgroup_id_z 0
		.amdhsa_system_sgpr_workgroup_info 0
		.amdhsa_system_vgpr_workitem_id 1
		.amdhsa_next_free_vgpr 31
		.amdhsa_next_free_sgpr 60
		.amdhsa_reserve_vcc 1
		.amdhsa_reserve_flat_scratch 0
		.amdhsa_float_round_mode_32 0
		.amdhsa_float_round_mode_16_64 0
		.amdhsa_float_denorm_mode_32 3
		.amdhsa_float_denorm_mode_16_64 3
		.amdhsa_dx10_clamp 1
		.amdhsa_ieee_mode 1
		.amdhsa_fp16_overflow 0
		.amdhsa_exception_fp_ieee_invalid_op 0
		.amdhsa_exception_fp_denorm_src 0
		.amdhsa_exception_fp_ieee_div_zero 0
		.amdhsa_exception_fp_ieee_overflow 0
		.amdhsa_exception_fp_ieee_underflow 0
		.amdhsa_exception_fp_ieee_inexact 0
		.amdhsa_exception_int_div_zero 0
	.end_amdhsa_kernel
	.section	.text._ZN2at6native12_GLOBAL__N_115adaptivemaxpoolIN3c108BFloat16EEEvPKT_PS5_Pliiiiiilllll,"axG",@progbits,_ZN2at6native12_GLOBAL__N_115adaptivemaxpoolIN3c108BFloat16EEEvPKT_PS5_Pliiiiiilllll,comdat
.Lfunc_end3:
	.size	_ZN2at6native12_GLOBAL__N_115adaptivemaxpoolIN3c108BFloat16EEEvPKT_PS5_Pliiiiiilllll, .Lfunc_end3-_ZN2at6native12_GLOBAL__N_115adaptivemaxpoolIN3c108BFloat16EEEvPKT_PS5_Pliiiiiilllll
                                        ; -- End function
	.set _ZN2at6native12_GLOBAL__N_115adaptivemaxpoolIN3c108BFloat16EEEvPKT_PS5_Pliiiiiilllll.num_vgpr, 31
	.set _ZN2at6native12_GLOBAL__N_115adaptivemaxpoolIN3c108BFloat16EEEvPKT_PS5_Pliiiiiilllll.num_agpr, 0
	.set _ZN2at6native12_GLOBAL__N_115adaptivemaxpoolIN3c108BFloat16EEEvPKT_PS5_Pliiiiiilllll.numbered_sgpr, 60
	.set _ZN2at6native12_GLOBAL__N_115adaptivemaxpoolIN3c108BFloat16EEEvPKT_PS5_Pliiiiiilllll.num_named_barrier, 0
	.set _ZN2at6native12_GLOBAL__N_115adaptivemaxpoolIN3c108BFloat16EEEvPKT_PS5_Pliiiiiilllll.private_seg_size, 0
	.set _ZN2at6native12_GLOBAL__N_115adaptivemaxpoolIN3c108BFloat16EEEvPKT_PS5_Pliiiiiilllll.uses_vcc, 1
	.set _ZN2at6native12_GLOBAL__N_115adaptivemaxpoolIN3c108BFloat16EEEvPKT_PS5_Pliiiiiilllll.uses_flat_scratch, 0
	.set _ZN2at6native12_GLOBAL__N_115adaptivemaxpoolIN3c108BFloat16EEEvPKT_PS5_Pliiiiiilllll.has_dyn_sized_stack, 0
	.set _ZN2at6native12_GLOBAL__N_115adaptivemaxpoolIN3c108BFloat16EEEvPKT_PS5_Pliiiiiilllll.has_recursion, 0
	.set _ZN2at6native12_GLOBAL__N_115adaptivemaxpoolIN3c108BFloat16EEEvPKT_PS5_Pliiiiiilllll.has_indirect_call, 0
	.section	.AMDGPU.csdata,"",@progbits
; Kernel info:
; codeLenInByte = 7276
; TotalNumSgprs: 64
; NumVgprs: 31
; ScratchSize: 0
; MemoryBound: 0
; FloatMode: 240
; IeeeMode: 1
; LDSByteSize: 0 bytes/workgroup (compile time only)
; SGPRBlocks: 7
; VGPRBlocks: 7
; NumSGPRsForWavesPerEU: 64
; NumVGPRsForWavesPerEU: 31
; Occupancy: 8
; WaveLimiterHint : 0
; COMPUTE_PGM_RSRC2:SCRATCH_EN: 0
; COMPUTE_PGM_RSRC2:USER_SGPR: 6
; COMPUTE_PGM_RSRC2:TRAP_HANDLER: 0
; COMPUTE_PGM_RSRC2:TGID_X_EN: 1
; COMPUTE_PGM_RSRC2:TGID_Y_EN: 1
; COMPUTE_PGM_RSRC2:TGID_Z_EN: 0
; COMPUTE_PGM_RSRC2:TIDIG_COMP_CNT: 1
	.section	.text._ZN2at6native12_GLOBAL__N_126atomicadaptivemaxgradinputIdEEvPT_PKS3_PKliiiiiil,"axG",@progbits,_ZN2at6native12_GLOBAL__N_126atomicadaptivemaxgradinputIdEEvPT_PKS3_PKliiiiiil,comdat
	.globl	_ZN2at6native12_GLOBAL__N_126atomicadaptivemaxgradinputIdEEvPT_PKS3_PKliiiiiil ; -- Begin function _ZN2at6native12_GLOBAL__N_126atomicadaptivemaxgradinputIdEEvPT_PKS3_PKliiiiiil
	.p2align	8
	.type	_ZN2at6native12_GLOBAL__N_126atomicadaptivemaxgradinputIdEEvPT_PKS3_PKliiiiiil,@function
_ZN2at6native12_GLOBAL__N_126atomicadaptivemaxgradinputIdEEvPT_PKS3_PKliiiiiil: ; @_ZN2at6native12_GLOBAL__N_126atomicadaptivemaxgradinputIdEEvPT_PKS3_PKliiiiiil
; %bb.0:
	s_load_dwordx8 s[8:15], s[4:5], 0x18
	s_mov_b32 s16, 0
	s_waitcnt lgkmcnt(0)
	s_add_u32 s0, s14, s6
	s_addc_u32 s1, s15, 0
	s_ashr_i32 s3, s11, 31
	s_mov_b32 s2, s11
	s_or_b64 s[14:15], s[0:1], s[2:3]
	s_mov_b32 s17, s15
	s_cmp_lg_u64 s[16:17], 0
	s_cbranch_scc0 .LBB4_12
; %bb.1:
	s_ashr_i32 s14, s3, 31
	s_add_u32 s16, s2, s14
	s_mov_b32 s15, s14
	s_addc_u32 s17, s3, s14
	s_xor_b64 s[18:19], s[16:17], s[14:15]
	v_cvt_f32_u32_e32 v2, s18
	v_cvt_f32_u32_e32 v3, s19
	s_sub_u32 s3, 0, s18
	s_subb_u32 s6, 0, s19
	v_madmk_f32 v2, v3, 0x4f800000, v2
	v_rcp_f32_e32 v2, v2
	v_mul_f32_e32 v2, 0x5f7ffffc, v2
	v_mul_f32_e32 v3, 0x2f800000, v2
	v_trunc_f32_e32 v3, v3
	v_madmk_f32 v2, v3, 0xcf800000, v2
	v_cvt_u32_f32_e32 v3, v3
	v_cvt_u32_f32_e32 v2, v2
	v_readfirstlane_b32 s11, v3
	v_readfirstlane_b32 s20, v2
	s_mul_i32 s21, s3, s11
	s_mul_hi_u32 s23, s3, s20
	s_mul_i32 s22, s6, s20
	s_add_i32 s21, s23, s21
	s_add_i32 s21, s21, s22
	s_mul_i32 s24, s3, s20
	s_mul_i32 s23, s20, s21
	s_mul_hi_u32 s25, s20, s24
	s_mul_hi_u32 s22, s20, s21
	s_add_u32 s23, s25, s23
	s_addc_u32 s22, 0, s22
	s_mul_hi_u32 s26, s11, s24
	s_mul_i32 s24, s11, s24
	s_add_u32 s23, s23, s24
	s_mul_hi_u32 s25, s11, s21
	s_addc_u32 s22, s22, s26
	s_addc_u32 s23, s25, 0
	s_mul_i32 s21, s11, s21
	s_add_u32 s21, s22, s21
	s_addc_u32 s22, 0, s23
	s_add_u32 s23, s20, s21
	s_cselect_b64 s[20:21], -1, 0
	s_cmp_lg_u64 s[20:21], 0
	s_addc_u32 s11, s11, s22
	s_mul_i32 s20, s3, s11
	s_mul_hi_u32 s21, s3, s23
	s_add_i32 s20, s21, s20
	s_mul_i32 s6, s6, s23
	s_add_i32 s20, s20, s6
	s_mul_i32 s3, s3, s23
	s_mul_hi_u32 s21, s11, s3
	s_mul_i32 s22, s11, s3
	s_mul_i32 s25, s23, s20
	s_mul_hi_u32 s3, s23, s3
	s_mul_hi_u32 s24, s23, s20
	s_add_u32 s3, s3, s25
	s_addc_u32 s24, 0, s24
	s_add_u32 s3, s3, s22
	s_mul_hi_u32 s6, s11, s20
	s_addc_u32 s3, s24, s21
	s_addc_u32 s6, s6, 0
	s_mul_i32 s20, s11, s20
	s_add_u32 s3, s3, s20
	s_addc_u32 s6, 0, s6
	s_add_u32 s3, s23, s3
	s_cselect_b64 s[20:21], -1, 0
	s_cmp_lg_u64 s[20:21], 0
	s_addc_u32 s6, s11, s6
	s_ashr_i32 s20, s1, 31
	s_add_u32 s22, s0, s20
	s_mov_b32 s21, s20
	s_addc_u32 s23, s1, s20
	s_xor_b64 s[22:23], s[22:23], s[20:21]
	s_mul_i32 s24, s22, s6
	s_mul_hi_u32 s25, s22, s3
	s_mul_hi_u32 s11, s22, s6
	s_add_u32 s24, s25, s24
	s_addc_u32 s11, 0, s11
	s_mul_hi_u32 s26, s23, s3
	s_mul_i32 s3, s23, s3
	s_add_u32 s3, s24, s3
	s_mul_hi_u32 s25, s23, s6
	s_addc_u32 s3, s11, s26
	s_addc_u32 s11, s25, 0
	s_mul_i32 s6, s23, s6
	s_add_u32 s3, s3, s6
	s_addc_u32 s6, 0, s11
	s_mul_i32 s11, s18, s6
	s_mul_hi_u32 s24, s18, s3
	s_add_i32 s11, s24, s11
	s_mul_i32 s24, s19, s3
	s_add_i32 s11, s11, s24
	s_sub_i32 s26, s23, s11
	s_mul_i32 s24, s18, s3
	s_sub_u32 s22, s22, s24
	s_cselect_b64 s[24:25], -1, 0
	s_cmp_lg_u64 s[24:25], 0
	s_subb_u32 s28, s26, s19
	s_sub_u32 s29, s22, s18
	s_cselect_b64 s[26:27], -1, 0
	s_cmp_lg_u64 s[26:27], 0
	s_subb_u32 s26, s28, 0
	s_cmp_ge_u32 s26, s19
	s_cselect_b32 s27, -1, 0
	s_cmp_ge_u32 s29, s18
	s_cselect_b32 s28, -1, 0
	s_cmp_eq_u32 s26, s19
	s_cselect_b32 s26, s28, s27
	s_add_u32 s27, s3, 1
	s_addc_u32 s28, s6, 0
	s_add_u32 s29, s3, 2
	s_addc_u32 s30, s6, 0
	s_cmp_lg_u32 s26, 0
	s_cselect_b32 s26, s29, s27
	s_cselect_b32 s27, s30, s28
	s_cmp_lg_u64 s[24:25], 0
	s_subb_u32 s11, s23, s11
	s_cmp_ge_u32 s11, s19
	s_cselect_b32 s23, -1, 0
	s_cmp_ge_u32 s22, s18
	s_cselect_b32 s18, -1, 0
	s_cmp_eq_u32 s11, s19
	s_cselect_b32 s11, s18, s23
	s_cmp_lg_u32 s11, 0
	s_cselect_b32 s19, s27, s6
	s_cselect_b32 s18, s26, s3
	s_xor_b64 s[14:15], s[20:21], s[14:15]
	s_xor_b64 s[18:19], s[18:19], s[14:15]
	s_sub_u32 s14, s18, s14
	s_load_dword s3, s[4:5], 0x44
	s_cbranch_execnz .LBB4_3
.LBB4_2:
	v_cvt_f32_u32_e32 v2, s2
	s_sub_i32 s6, 0, s2
	v_rcp_iflag_f32_e32 v2, v2
	v_mul_f32_e32 v2, 0x4f7ffffe, v2
	v_cvt_u32_f32_e32 v2, v2
	v_readfirstlane_b32 s11, v2
	s_mul_i32 s6, s6, s11
	s_mul_hi_u32 s6, s11, s6
	s_add_i32 s11, s11, s6
	s_mul_hi_u32 s6, s0, s11
	s_mul_i32 s14, s6, s2
	s_sub_i32 s14, s0, s14
	s_add_i32 s11, s6, 1
	s_sub_i32 s15, s14, s2
	s_cmp_ge_u32 s14, s2
	s_cselect_b32 s6, s11, s6
	s_cselect_b32 s14, s15, s14
	s_add_i32 s11, s6, 1
	s_cmp_ge_u32 s14, s2
	s_cselect_b32 s14, s11, s6
.LBB4_3:
	s_waitcnt lgkmcnt(0)
	s_lshr_b32 s2, s3, 16
	s_mul_i32 s7, s7, s2
	v_add_u32_e32 v11, s7, v1
	v_cmp_gt_i32_e32 vcc, s12, v11
	s_and_saveexec_b64 s[6:7], vcc
	s_cbranch_execz .LBB4_11
; %bb.4:
	s_load_dword s20, s[4:5], 0x3c
	s_load_dwordx4 s[16:19], s[4:5], 0x0
	s_load_dwordx2 s[6:7], s[4:5], 0x10
	s_mul_i32 s4, s9, s8
	s_mul_i32 s4, s4, s10
	;; [unrolled: 1-line block ×3, first 2 shown]
	s_ashr_i32 s5, s4, 31
	s_lshl_b64 s[4:5], s[4:5], 3
	s_waitcnt lgkmcnt(0)
	s_add_u32 s10, s16, s4
	s_mul_i32 s8, s13, s12
	s_addc_u32 s4, s17, s5
	s_mul_hi_i32 s5, s13, s12
	s_mul_i32 s1, s8, s1
	s_mul_hi_u32 s9, s8, s0
	s_add_i32 s1, s9, s1
	s_mul_i32 s5, s5, s0
	s_add_i32 s1, s1, s5
	s_mul_i32 s0, s8, s0
	s_lshl_b64 s[0:1], s[0:1], 3
	s_add_u32 s11, s18, s0
	s_addc_u32 s14, s19, s1
	s_add_u32 s15, s6, s0
	s_addc_u32 s16, s7, s1
	s_mul_i32 s17, s20, s2
	s_and_b32 s18, s3, 0xffff
	v_cmp_gt_i32_e32 vcc, s13, v0
	s_mov_b64 s[2:3], 0
	v_mov_b32_e32 v6, 0
	v_mov_b32_e32 v12, s4
	s_branch .LBB4_6
.LBB4_5:                                ;   in Loop: Header=BB4_6 Depth=1
	s_or_b64 exec, exec, s[4:5]
	v_add_u32_e32 v11, s17, v11
	v_cmp_le_i32_e64 s[0:1], s12, v11
	s_or_b64 s[2:3], s[0:1], s[2:3]
	s_andn2_b64 exec, exec, s[2:3]
	s_cbranch_execz .LBB4_11
.LBB4_6:                                ; =>This Loop Header: Depth=1
                                        ;     Child Loop BB4_8 Depth 2
                                        ;       Child Loop BB4_9 Depth 3
	s_and_saveexec_b64 s[4:5], vcc
	s_cbranch_execz .LBB4_5
; %bb.7:                                ;   in Loop: Header=BB4_6 Depth=1
	v_mul_lo_u32 v1, v11, s13
	v_mov_b32_e32 v3, s14
	s_mov_b64 s[6:7], 0
	v_mov_b32_e32 v5, v0
	v_ashrrev_i32_e32 v2, 31, v1
	v_lshlrev_b64 v[1:2], 3, v[1:2]
	v_add_co_u32_e64 v13, s[0:1], s11, v1
	v_addc_co_u32_e64 v14, s[0:1], v3, v2, s[0:1]
	v_mov_b32_e32 v3, s16
	v_add_co_u32_e64 v15, s[0:1], s15, v1
	v_addc_co_u32_e64 v16, s[0:1], v3, v2, s[0:1]
.LBB4_8:                                ;   Parent Loop BB4_6 Depth=1
                                        ; =>  This Loop Header: Depth=2
                                        ;       Child Loop BB4_9 Depth 3
	v_lshlrev_b64 v[1:2], 3, v[5:6]
	s_mov_b64 s[8:9], 0
	v_add_co_u32_e64 v3, s[0:1], v15, v1
	v_addc_co_u32_e64 v4, s[0:1], v16, v2, s[0:1]
	global_load_dwordx2 v[3:4], v[3:4], off
	v_add_co_u32_e64 v1, s[0:1], v13, v1
	v_addc_co_u32_e64 v2, s[0:1], v14, v2, s[0:1]
	global_load_dwordx2 v[7:8], v[1:2], off
	s_waitcnt vmcnt(1)
	v_lshlrev_b64 v[1:2], 3, v[3:4]
	v_add_co_u32_e64 v9, s[0:1], s10, v1
	v_addc_co_u32_e64 v10, s[0:1], v12, v2, s[0:1]
	global_load_dwordx2 v[3:4], v[9:10], off
.LBB4_9:                                ;   Parent Loop BB4_6 Depth=1
                                        ;     Parent Loop BB4_8 Depth=2
                                        ; =>    This Inner Loop Header: Depth=3
	s_waitcnt vmcnt(0)
	v_add_f64 v[1:2], v[3:4], v[7:8]
	global_atomic_cmpswap_x2 v[1:2], v[9:10], v[1:4], off glc
	s_waitcnt vmcnt(0)
	v_cmp_eq_u64_e64 s[0:1], v[1:2], v[3:4]
	v_mov_b32_e32 v4, v2
	s_or_b64 s[8:9], s[0:1], s[8:9]
	v_mov_b32_e32 v3, v1
	s_andn2_b64 exec, exec, s[8:9]
	s_cbranch_execnz .LBB4_9
; %bb.10:                               ;   in Loop: Header=BB4_8 Depth=2
	s_or_b64 exec, exec, s[8:9]
	v_add_u32_e32 v5, s18, v5
	v_cmp_le_i32_e64 s[0:1], s13, v5
	s_or_b64 s[6:7], s[0:1], s[6:7]
	s_andn2_b64 exec, exec, s[6:7]
	s_cbranch_execnz .LBB4_8
	s_branch .LBB4_5
.LBB4_11:
	s_endpgm
.LBB4_12:
                                        ; implicit-def: $sgpr14_sgpr15
	s_load_dword s3, s[4:5], 0x44
	s_branch .LBB4_2
	.section	.rodata,"a",@progbits
	.p2align	6, 0x0
	.amdhsa_kernel _ZN2at6native12_GLOBAL__N_126atomicadaptivemaxgradinputIdEEvPT_PKS3_PKliiiiiil
		.amdhsa_group_segment_fixed_size 0
		.amdhsa_private_segment_fixed_size 0
		.amdhsa_kernarg_size 312
		.amdhsa_user_sgpr_count 6
		.amdhsa_user_sgpr_private_segment_buffer 1
		.amdhsa_user_sgpr_dispatch_ptr 0
		.amdhsa_user_sgpr_queue_ptr 0
		.amdhsa_user_sgpr_kernarg_segment_ptr 1
		.amdhsa_user_sgpr_dispatch_id 0
		.amdhsa_user_sgpr_flat_scratch_init 0
		.amdhsa_user_sgpr_private_segment_size 0
		.amdhsa_uses_dynamic_stack 0
		.amdhsa_system_sgpr_private_segment_wavefront_offset 0
		.amdhsa_system_sgpr_workgroup_id_x 1
		.amdhsa_system_sgpr_workgroup_id_y 1
		.amdhsa_system_sgpr_workgroup_id_z 0
		.amdhsa_system_sgpr_workgroup_info 0
		.amdhsa_system_vgpr_workitem_id 1
		.amdhsa_next_free_vgpr 17
		.amdhsa_next_free_sgpr 31
		.amdhsa_reserve_vcc 1
		.amdhsa_reserve_flat_scratch 0
		.amdhsa_float_round_mode_32 0
		.amdhsa_float_round_mode_16_64 0
		.amdhsa_float_denorm_mode_32 3
		.amdhsa_float_denorm_mode_16_64 3
		.amdhsa_dx10_clamp 1
		.amdhsa_ieee_mode 1
		.amdhsa_fp16_overflow 0
		.amdhsa_exception_fp_ieee_invalid_op 0
		.amdhsa_exception_fp_denorm_src 0
		.amdhsa_exception_fp_ieee_div_zero 0
		.amdhsa_exception_fp_ieee_overflow 0
		.amdhsa_exception_fp_ieee_underflow 0
		.amdhsa_exception_fp_ieee_inexact 0
		.amdhsa_exception_int_div_zero 0
	.end_amdhsa_kernel
	.section	.text._ZN2at6native12_GLOBAL__N_126atomicadaptivemaxgradinputIdEEvPT_PKS3_PKliiiiiil,"axG",@progbits,_ZN2at6native12_GLOBAL__N_126atomicadaptivemaxgradinputIdEEvPT_PKS3_PKliiiiiil,comdat
.Lfunc_end4:
	.size	_ZN2at6native12_GLOBAL__N_126atomicadaptivemaxgradinputIdEEvPT_PKS3_PKliiiiiil, .Lfunc_end4-_ZN2at6native12_GLOBAL__N_126atomicadaptivemaxgradinputIdEEvPT_PKS3_PKliiiiiil
                                        ; -- End function
	.set _ZN2at6native12_GLOBAL__N_126atomicadaptivemaxgradinputIdEEvPT_PKS3_PKliiiiiil.num_vgpr, 17
	.set _ZN2at6native12_GLOBAL__N_126atomicadaptivemaxgradinputIdEEvPT_PKS3_PKliiiiiil.num_agpr, 0
	.set _ZN2at6native12_GLOBAL__N_126atomicadaptivemaxgradinputIdEEvPT_PKS3_PKliiiiiil.numbered_sgpr, 31
	.set _ZN2at6native12_GLOBAL__N_126atomicadaptivemaxgradinputIdEEvPT_PKS3_PKliiiiiil.num_named_barrier, 0
	.set _ZN2at6native12_GLOBAL__N_126atomicadaptivemaxgradinputIdEEvPT_PKS3_PKliiiiiil.private_seg_size, 0
	.set _ZN2at6native12_GLOBAL__N_126atomicadaptivemaxgradinputIdEEvPT_PKS3_PKliiiiiil.uses_vcc, 1
	.set _ZN2at6native12_GLOBAL__N_126atomicadaptivemaxgradinputIdEEvPT_PKS3_PKliiiiiil.uses_flat_scratch, 0
	.set _ZN2at6native12_GLOBAL__N_126atomicadaptivemaxgradinputIdEEvPT_PKS3_PKliiiiiil.has_dyn_sized_stack, 0
	.set _ZN2at6native12_GLOBAL__N_126atomicadaptivemaxgradinputIdEEvPT_PKS3_PKliiiiiil.has_recursion, 0
	.set _ZN2at6native12_GLOBAL__N_126atomicadaptivemaxgradinputIdEEvPT_PKS3_PKliiiiiil.has_indirect_call, 0
	.section	.AMDGPU.csdata,"",@progbits
; Kernel info:
; codeLenInByte = 1148
; TotalNumSgprs: 35
; NumVgprs: 17
; ScratchSize: 0
; MemoryBound: 0
; FloatMode: 240
; IeeeMode: 1
; LDSByteSize: 0 bytes/workgroup (compile time only)
; SGPRBlocks: 4
; VGPRBlocks: 4
; NumSGPRsForWavesPerEU: 35
; NumVGPRsForWavesPerEU: 17
; Occupancy: 10
; WaveLimiterHint : 1
; COMPUTE_PGM_RSRC2:SCRATCH_EN: 0
; COMPUTE_PGM_RSRC2:USER_SGPR: 6
; COMPUTE_PGM_RSRC2:TRAP_HANDLER: 0
; COMPUTE_PGM_RSRC2:TGID_X_EN: 1
; COMPUTE_PGM_RSRC2:TGID_Y_EN: 1
; COMPUTE_PGM_RSRC2:TGID_Z_EN: 0
; COMPUTE_PGM_RSRC2:TIDIG_COMP_CNT: 1
	.section	.text._ZN2at6native12_GLOBAL__N_126atomicadaptivemaxgradinputIfEEvPT_PKS3_PKliiiiiil,"axG",@progbits,_ZN2at6native12_GLOBAL__N_126atomicadaptivemaxgradinputIfEEvPT_PKS3_PKliiiiiil,comdat
	.globl	_ZN2at6native12_GLOBAL__N_126atomicadaptivemaxgradinputIfEEvPT_PKS3_PKliiiiiil ; -- Begin function _ZN2at6native12_GLOBAL__N_126atomicadaptivemaxgradinputIfEEvPT_PKS3_PKliiiiiil
	.p2align	8
	.type	_ZN2at6native12_GLOBAL__N_126atomicadaptivemaxgradinputIfEEvPT_PKS3_PKliiiiiil,@function
_ZN2at6native12_GLOBAL__N_126atomicadaptivemaxgradinputIfEEvPT_PKS3_PKliiiiiil: ; @_ZN2at6native12_GLOBAL__N_126atomicadaptivemaxgradinputIfEEvPT_PKS3_PKliiiiiil
; %bb.0:
	s_load_dwordx8 s[8:15], s[4:5], 0x18
	s_mov_b32 s16, 0
	s_waitcnt lgkmcnt(0)
	s_add_u32 s0, s14, s6
	s_addc_u32 s1, s15, 0
	s_ashr_i32 s3, s11, 31
	s_mov_b32 s2, s11
	s_or_b64 s[14:15], s[0:1], s[2:3]
	s_mov_b32 s17, s15
	s_cmp_lg_u64 s[16:17], 0
	s_cbranch_scc0 .LBB5_12
; %bb.1:
	s_ashr_i32 s14, s3, 31
	s_add_u32 s16, s2, s14
	s_mov_b32 s15, s14
	s_addc_u32 s17, s3, s14
	s_xor_b64 s[18:19], s[16:17], s[14:15]
	v_cvt_f32_u32_e32 v2, s18
	v_cvt_f32_u32_e32 v3, s19
	s_sub_u32 s3, 0, s18
	s_subb_u32 s6, 0, s19
	v_madmk_f32 v2, v3, 0x4f800000, v2
	v_rcp_f32_e32 v2, v2
	v_mul_f32_e32 v2, 0x5f7ffffc, v2
	v_mul_f32_e32 v3, 0x2f800000, v2
	v_trunc_f32_e32 v3, v3
	v_madmk_f32 v2, v3, 0xcf800000, v2
	v_cvt_u32_f32_e32 v3, v3
	v_cvt_u32_f32_e32 v2, v2
	v_readfirstlane_b32 s11, v3
	v_readfirstlane_b32 s20, v2
	s_mul_i32 s21, s3, s11
	s_mul_hi_u32 s23, s3, s20
	s_mul_i32 s22, s6, s20
	s_add_i32 s21, s23, s21
	s_add_i32 s21, s21, s22
	s_mul_i32 s24, s3, s20
	s_mul_i32 s23, s20, s21
	s_mul_hi_u32 s25, s20, s24
	s_mul_hi_u32 s22, s20, s21
	s_add_u32 s23, s25, s23
	s_addc_u32 s22, 0, s22
	s_mul_hi_u32 s26, s11, s24
	s_mul_i32 s24, s11, s24
	s_add_u32 s23, s23, s24
	s_mul_hi_u32 s25, s11, s21
	s_addc_u32 s22, s22, s26
	s_addc_u32 s23, s25, 0
	s_mul_i32 s21, s11, s21
	s_add_u32 s21, s22, s21
	s_addc_u32 s22, 0, s23
	s_add_u32 s23, s20, s21
	s_cselect_b64 s[20:21], -1, 0
	s_cmp_lg_u64 s[20:21], 0
	s_addc_u32 s11, s11, s22
	s_mul_i32 s20, s3, s11
	s_mul_hi_u32 s21, s3, s23
	s_add_i32 s20, s21, s20
	s_mul_i32 s6, s6, s23
	s_add_i32 s20, s20, s6
	s_mul_i32 s3, s3, s23
	s_mul_hi_u32 s21, s11, s3
	s_mul_i32 s22, s11, s3
	s_mul_i32 s25, s23, s20
	s_mul_hi_u32 s3, s23, s3
	s_mul_hi_u32 s24, s23, s20
	s_add_u32 s3, s3, s25
	s_addc_u32 s24, 0, s24
	s_add_u32 s3, s3, s22
	s_mul_hi_u32 s6, s11, s20
	s_addc_u32 s3, s24, s21
	s_addc_u32 s6, s6, 0
	s_mul_i32 s20, s11, s20
	s_add_u32 s3, s3, s20
	s_addc_u32 s6, 0, s6
	s_add_u32 s3, s23, s3
	s_cselect_b64 s[20:21], -1, 0
	s_cmp_lg_u64 s[20:21], 0
	s_addc_u32 s6, s11, s6
	s_ashr_i32 s20, s1, 31
	s_add_u32 s22, s0, s20
	s_mov_b32 s21, s20
	s_addc_u32 s23, s1, s20
	s_xor_b64 s[22:23], s[22:23], s[20:21]
	s_mul_i32 s24, s22, s6
	s_mul_hi_u32 s25, s22, s3
	s_mul_hi_u32 s11, s22, s6
	s_add_u32 s24, s25, s24
	s_addc_u32 s11, 0, s11
	s_mul_hi_u32 s26, s23, s3
	s_mul_i32 s3, s23, s3
	s_add_u32 s3, s24, s3
	s_mul_hi_u32 s25, s23, s6
	s_addc_u32 s3, s11, s26
	s_addc_u32 s11, s25, 0
	s_mul_i32 s6, s23, s6
	s_add_u32 s3, s3, s6
	s_addc_u32 s6, 0, s11
	s_mul_i32 s11, s18, s6
	s_mul_hi_u32 s24, s18, s3
	s_add_i32 s11, s24, s11
	s_mul_i32 s24, s19, s3
	s_add_i32 s11, s11, s24
	s_sub_i32 s26, s23, s11
	s_mul_i32 s24, s18, s3
	s_sub_u32 s22, s22, s24
	s_cselect_b64 s[24:25], -1, 0
	s_cmp_lg_u64 s[24:25], 0
	s_subb_u32 s28, s26, s19
	s_sub_u32 s29, s22, s18
	s_cselect_b64 s[26:27], -1, 0
	s_cmp_lg_u64 s[26:27], 0
	s_subb_u32 s26, s28, 0
	s_cmp_ge_u32 s26, s19
	s_cselect_b32 s27, -1, 0
	s_cmp_ge_u32 s29, s18
	s_cselect_b32 s28, -1, 0
	s_cmp_eq_u32 s26, s19
	s_cselect_b32 s26, s28, s27
	s_add_u32 s27, s3, 1
	s_addc_u32 s28, s6, 0
	s_add_u32 s29, s3, 2
	s_addc_u32 s30, s6, 0
	s_cmp_lg_u32 s26, 0
	s_cselect_b32 s26, s29, s27
	s_cselect_b32 s27, s30, s28
	s_cmp_lg_u64 s[24:25], 0
	s_subb_u32 s11, s23, s11
	s_cmp_ge_u32 s11, s19
	s_cselect_b32 s23, -1, 0
	s_cmp_ge_u32 s22, s18
	s_cselect_b32 s18, -1, 0
	s_cmp_eq_u32 s11, s19
	s_cselect_b32 s11, s18, s23
	s_cmp_lg_u32 s11, 0
	s_cselect_b32 s19, s27, s6
	s_cselect_b32 s18, s26, s3
	s_xor_b64 s[14:15], s[20:21], s[14:15]
	s_xor_b64 s[18:19], s[18:19], s[14:15]
	s_sub_u32 s14, s18, s14
	s_load_dword s3, s[4:5], 0x44
	s_cbranch_execnz .LBB5_3
.LBB5_2:
	v_cvt_f32_u32_e32 v2, s2
	s_sub_i32 s6, 0, s2
	v_rcp_iflag_f32_e32 v2, v2
	v_mul_f32_e32 v2, 0x4f7ffffe, v2
	v_cvt_u32_f32_e32 v2, v2
	v_readfirstlane_b32 s11, v2
	s_mul_i32 s6, s6, s11
	s_mul_hi_u32 s6, s11, s6
	s_add_i32 s11, s11, s6
	s_mul_hi_u32 s6, s0, s11
	s_mul_i32 s14, s6, s2
	s_sub_i32 s14, s0, s14
	s_add_i32 s11, s6, 1
	s_sub_i32 s15, s14, s2
	s_cmp_ge_u32 s14, s2
	s_cselect_b32 s6, s11, s6
	s_cselect_b32 s14, s15, s14
	s_add_i32 s11, s6, 1
	s_cmp_ge_u32 s14, s2
	s_cselect_b32 s14, s11, s6
.LBB5_3:
	s_waitcnt lgkmcnt(0)
	s_lshr_b32 s2, s3, 16
	s_mul_i32 s7, s7, s2
	v_add_u32_e32 v7, s7, v1
	v_cmp_gt_i32_e32 vcc, s12, v7
	s_and_saveexec_b64 s[6:7], vcc
	s_cbranch_execz .LBB5_11
; %bb.4:
	s_load_dword s20, s[4:5], 0x3c
	s_load_dwordx4 s[16:19], s[4:5], 0x0
	s_load_dwordx2 s[6:7], s[4:5], 0x10
	s_mul_i32 s4, s9, s8
	s_mul_i32 s4, s4, s10
	;; [unrolled: 1-line block ×3, first 2 shown]
	s_ashr_i32 s5, s4, 31
	s_lshl_b64 s[4:5], s[4:5], 2
	s_waitcnt lgkmcnt(0)
	s_add_u32 s10, s16, s4
	s_addc_u32 s8, s17, s5
	s_mul_i32 s5, s13, s12
	s_mul_hi_i32 s4, s13, s12
	s_mul_i32 s1, s5, s1
	s_mul_hi_u32 s9, s5, s0
	s_add_i32 s1, s9, s1
	s_mul_i32 s4, s4, s0
	s_add_i32 s1, s1, s4
	s_mul_i32 s0, s5, s0
	s_lshl_b64 s[4:5], s[0:1], 2
	s_add_u32 s11, s18, s4
	s_addc_u32 s14, s19, s5
	s_lshl_b64 s[0:1], s[0:1], 3
	s_add_u32 s15, s6, s0
	s_addc_u32 s16, s7, s1
	s_mul_i32 s17, s20, s2
	s_and_b32 s18, s3, 0xffff
	v_cmp_gt_i32_e32 vcc, s13, v0
	s_mov_b64 s[2:3], 0
	v_mov_b32_e32 v2, 0
	v_mov_b32_e32 v8, s8
	s_branch .LBB5_6
.LBB5_5:                                ;   in Loop: Header=BB5_6 Depth=1
	s_or_b64 exec, exec, s[4:5]
	v_add_u32_e32 v7, s17, v7
	v_cmp_le_i32_e64 s[0:1], s12, v7
	s_or_b64 s[2:3], s[0:1], s[2:3]
	s_andn2_b64 exec, exec, s[2:3]
	s_cbranch_execz .LBB5_11
.LBB5_6:                                ; =>This Loop Header: Depth=1
                                        ;     Child Loop BB5_8 Depth 2
                                        ;       Child Loop BB5_9 Depth 3
	s_and_saveexec_b64 s[4:5], vcc
	s_cbranch_execz .LBB5_5
; %bb.7:                                ;   in Loop: Header=BB5_6 Depth=1
	v_mul_lo_u32 v3, v7, s13
	v_mov_b32_e32 v1, s14
	s_mov_b64 s[6:7], 0
	v_ashrrev_i32_e32 v4, 31, v3
	v_lshlrev_b64 v[5:6], 2, v[3:4]
	v_lshlrev_b64 v[3:4], 3, v[3:4]
	v_add_co_u32_e64 v9, s[0:1], s11, v5
	v_addc_co_u32_e64 v10, s[0:1], v1, v6, s[0:1]
	v_mov_b32_e32 v1, s16
	v_add_co_u32_e64 v11, s[0:1], s15, v3
	v_addc_co_u32_e64 v12, s[0:1], v1, v4, s[0:1]
	v_mov_b32_e32 v1, v0
.LBB5_8:                                ;   Parent Loop BB5_6 Depth=1
                                        ; =>  This Loop Header: Depth=2
                                        ;       Child Loop BB5_9 Depth 3
	v_lshlrev_b64 v[3:4], 3, v[1:2]
	v_lshlrev_b64 v[5:6], 2, v[1:2]
	v_add_co_u32_e64 v3, s[0:1], v11, v3
	v_addc_co_u32_e64 v4, s[0:1], v12, v4, s[0:1]
	global_load_dwordx2 v[3:4], v[3:4], off
	v_add_co_u32_e64 v5, s[0:1], v9, v5
	v_addc_co_u32_e64 v6, s[0:1], v10, v6, s[0:1]
	global_load_dword v13, v[5:6], off
	s_mov_b64 s[8:9], 0
	s_waitcnt vmcnt(1)
	v_lshlrev_b64 v[3:4], 2, v[3:4]
	v_add_co_u32_e64 v3, s[0:1], s10, v3
	v_addc_co_u32_e64 v4, s[0:1], v8, v4, s[0:1]
	global_load_dword v6, v[3:4], off
.LBB5_9:                                ;   Parent Loop BB5_6 Depth=1
                                        ;     Parent Loop BB5_8 Depth=2
                                        ; =>    This Inner Loop Header: Depth=3
	s_waitcnt vmcnt(0)
	v_add_f32_e32 v5, v6, v13
	global_atomic_cmpswap v5, v[3:4], v[5:6], off glc
	s_waitcnt vmcnt(0)
	v_cmp_eq_u32_e64 s[0:1], v5, v6
	s_or_b64 s[8:9], s[0:1], s[8:9]
	v_mov_b32_e32 v6, v5
	s_andn2_b64 exec, exec, s[8:9]
	s_cbranch_execnz .LBB5_9
; %bb.10:                               ;   in Loop: Header=BB5_8 Depth=2
	s_or_b64 exec, exec, s[8:9]
	v_add_u32_e32 v1, s18, v1
	v_cmp_le_i32_e64 s[0:1], s13, v1
	s_or_b64 s[6:7], s[0:1], s[6:7]
	s_andn2_b64 exec, exec, s[6:7]
	s_cbranch_execnz .LBB5_8
	s_branch .LBB5_5
.LBB5_11:
	s_endpgm
.LBB5_12:
                                        ; implicit-def: $sgpr14_sgpr15
	s_load_dword s3, s[4:5], 0x44
	s_branch .LBB5_2
	.section	.rodata,"a",@progbits
	.p2align	6, 0x0
	.amdhsa_kernel _ZN2at6native12_GLOBAL__N_126atomicadaptivemaxgradinputIfEEvPT_PKS3_PKliiiiiil
		.amdhsa_group_segment_fixed_size 0
		.amdhsa_private_segment_fixed_size 0
		.amdhsa_kernarg_size 312
		.amdhsa_user_sgpr_count 6
		.amdhsa_user_sgpr_private_segment_buffer 1
		.amdhsa_user_sgpr_dispatch_ptr 0
		.amdhsa_user_sgpr_queue_ptr 0
		.amdhsa_user_sgpr_kernarg_segment_ptr 1
		.amdhsa_user_sgpr_dispatch_id 0
		.amdhsa_user_sgpr_flat_scratch_init 0
		.amdhsa_user_sgpr_private_segment_size 0
		.amdhsa_uses_dynamic_stack 0
		.amdhsa_system_sgpr_private_segment_wavefront_offset 0
		.amdhsa_system_sgpr_workgroup_id_x 1
		.amdhsa_system_sgpr_workgroup_id_y 1
		.amdhsa_system_sgpr_workgroup_id_z 0
		.amdhsa_system_sgpr_workgroup_info 0
		.amdhsa_system_vgpr_workitem_id 1
		.amdhsa_next_free_vgpr 14
		.amdhsa_next_free_sgpr 31
		.amdhsa_reserve_vcc 1
		.amdhsa_reserve_flat_scratch 0
		.amdhsa_float_round_mode_32 0
		.amdhsa_float_round_mode_16_64 0
		.amdhsa_float_denorm_mode_32 3
		.amdhsa_float_denorm_mode_16_64 3
		.amdhsa_dx10_clamp 1
		.amdhsa_ieee_mode 1
		.amdhsa_fp16_overflow 0
		.amdhsa_exception_fp_ieee_invalid_op 0
		.amdhsa_exception_fp_denorm_src 0
		.amdhsa_exception_fp_ieee_div_zero 0
		.amdhsa_exception_fp_ieee_overflow 0
		.amdhsa_exception_fp_ieee_underflow 0
		.amdhsa_exception_fp_ieee_inexact 0
		.amdhsa_exception_int_div_zero 0
	.end_amdhsa_kernel
	.section	.text._ZN2at6native12_GLOBAL__N_126atomicadaptivemaxgradinputIfEEvPT_PKS3_PKliiiiiil,"axG",@progbits,_ZN2at6native12_GLOBAL__N_126atomicadaptivemaxgradinputIfEEvPT_PKS3_PKliiiiiil,comdat
.Lfunc_end5:
	.size	_ZN2at6native12_GLOBAL__N_126atomicadaptivemaxgradinputIfEEvPT_PKS3_PKliiiiiil, .Lfunc_end5-_ZN2at6native12_GLOBAL__N_126atomicadaptivemaxgradinputIfEEvPT_PKS3_PKliiiiiil
                                        ; -- End function
	.set _ZN2at6native12_GLOBAL__N_126atomicadaptivemaxgradinputIfEEvPT_PKS3_PKliiiiiil.num_vgpr, 14
	.set _ZN2at6native12_GLOBAL__N_126atomicadaptivemaxgradinputIfEEvPT_PKS3_PKliiiiiil.num_agpr, 0
	.set _ZN2at6native12_GLOBAL__N_126atomicadaptivemaxgradinputIfEEvPT_PKS3_PKliiiiiil.numbered_sgpr, 31
	.set _ZN2at6native12_GLOBAL__N_126atomicadaptivemaxgradinputIfEEvPT_PKS3_PKliiiiiil.num_named_barrier, 0
	.set _ZN2at6native12_GLOBAL__N_126atomicadaptivemaxgradinputIfEEvPT_PKS3_PKliiiiiil.private_seg_size, 0
	.set _ZN2at6native12_GLOBAL__N_126atomicadaptivemaxgradinputIfEEvPT_PKS3_PKliiiiiil.uses_vcc, 1
	.set _ZN2at6native12_GLOBAL__N_126atomicadaptivemaxgradinputIfEEvPT_PKS3_PKliiiiiil.uses_flat_scratch, 0
	.set _ZN2at6native12_GLOBAL__N_126atomicadaptivemaxgradinputIfEEvPT_PKS3_PKliiiiiil.has_dyn_sized_stack, 0
	.set _ZN2at6native12_GLOBAL__N_126atomicadaptivemaxgradinputIfEEvPT_PKS3_PKliiiiiil.has_recursion, 0
	.set _ZN2at6native12_GLOBAL__N_126atomicadaptivemaxgradinputIfEEvPT_PKS3_PKliiiiiil.has_indirect_call, 0
	.section	.AMDGPU.csdata,"",@progbits
; Kernel info:
; codeLenInByte = 1160
; TotalNumSgprs: 35
; NumVgprs: 14
; ScratchSize: 0
; MemoryBound: 0
; FloatMode: 240
; IeeeMode: 1
; LDSByteSize: 0 bytes/workgroup (compile time only)
; SGPRBlocks: 4
; VGPRBlocks: 3
; NumSGPRsForWavesPerEU: 35
; NumVGPRsForWavesPerEU: 14
; Occupancy: 10
; WaveLimiterHint : 1
; COMPUTE_PGM_RSRC2:SCRATCH_EN: 0
; COMPUTE_PGM_RSRC2:USER_SGPR: 6
; COMPUTE_PGM_RSRC2:TRAP_HANDLER: 0
; COMPUTE_PGM_RSRC2:TGID_X_EN: 1
; COMPUTE_PGM_RSRC2:TGID_Y_EN: 1
; COMPUTE_PGM_RSRC2:TGID_Z_EN: 0
; COMPUTE_PGM_RSRC2:TIDIG_COMP_CNT: 1
	.section	.text._ZN2at6native12_GLOBAL__N_126atomicadaptivemaxgradinputIN3c104HalfEEEvPT_PKS5_PKliiiiiil,"axG",@progbits,_ZN2at6native12_GLOBAL__N_126atomicadaptivemaxgradinputIN3c104HalfEEEvPT_PKS5_PKliiiiiil,comdat
	.globl	_ZN2at6native12_GLOBAL__N_126atomicadaptivemaxgradinputIN3c104HalfEEEvPT_PKS5_PKliiiiiil ; -- Begin function _ZN2at6native12_GLOBAL__N_126atomicadaptivemaxgradinputIN3c104HalfEEEvPT_PKS5_PKliiiiiil
	.p2align	8
	.type	_ZN2at6native12_GLOBAL__N_126atomicadaptivemaxgradinputIN3c104HalfEEEvPT_PKS5_PKliiiiiil,@function
_ZN2at6native12_GLOBAL__N_126atomicadaptivemaxgradinputIN3c104HalfEEEvPT_PKS5_PKliiiiiil: ; @_ZN2at6native12_GLOBAL__N_126atomicadaptivemaxgradinputIN3c104HalfEEEvPT_PKS5_PKliiiiiil
; %bb.0:
	s_load_dwordx8 s[8:15], s[4:5], 0x18
	s_mov_b32 s16, 0
	s_waitcnt lgkmcnt(0)
	s_add_u32 s0, s14, s6
	s_addc_u32 s1, s15, 0
	s_ashr_i32 s3, s11, 31
	s_mov_b32 s2, s11
	s_or_b64 s[14:15], s[0:1], s[2:3]
	s_mov_b32 s17, s15
	s_cmp_lg_u64 s[16:17], 0
	s_cbranch_scc0 .LBB6_16
; %bb.1:
	s_ashr_i32 s14, s3, 31
	s_add_u32 s16, s2, s14
	s_mov_b32 s15, s14
	s_addc_u32 s17, s3, s14
	s_xor_b64 s[18:19], s[16:17], s[14:15]
	v_cvt_f32_u32_e32 v2, s18
	v_cvt_f32_u32_e32 v3, s19
	s_sub_u32 s3, 0, s18
	s_subb_u32 s6, 0, s19
	v_madmk_f32 v2, v3, 0x4f800000, v2
	v_rcp_f32_e32 v2, v2
	v_mul_f32_e32 v2, 0x5f7ffffc, v2
	v_mul_f32_e32 v3, 0x2f800000, v2
	v_trunc_f32_e32 v3, v3
	v_madmk_f32 v2, v3, 0xcf800000, v2
	v_cvt_u32_f32_e32 v3, v3
	v_cvt_u32_f32_e32 v2, v2
	v_readfirstlane_b32 s11, v3
	v_readfirstlane_b32 s20, v2
	s_mul_i32 s21, s3, s11
	s_mul_hi_u32 s23, s3, s20
	s_mul_i32 s22, s6, s20
	s_add_i32 s21, s23, s21
	s_add_i32 s21, s21, s22
	s_mul_i32 s24, s3, s20
	s_mul_i32 s23, s20, s21
	s_mul_hi_u32 s25, s20, s24
	s_mul_hi_u32 s22, s20, s21
	s_add_u32 s23, s25, s23
	s_addc_u32 s22, 0, s22
	s_mul_hi_u32 s26, s11, s24
	s_mul_i32 s24, s11, s24
	s_add_u32 s23, s23, s24
	s_mul_hi_u32 s25, s11, s21
	s_addc_u32 s22, s22, s26
	s_addc_u32 s23, s25, 0
	s_mul_i32 s21, s11, s21
	s_add_u32 s21, s22, s21
	s_addc_u32 s22, 0, s23
	s_add_u32 s23, s20, s21
	s_cselect_b64 s[20:21], -1, 0
	s_cmp_lg_u64 s[20:21], 0
	s_addc_u32 s11, s11, s22
	s_mul_i32 s20, s3, s11
	s_mul_hi_u32 s21, s3, s23
	s_add_i32 s20, s21, s20
	s_mul_i32 s6, s6, s23
	s_add_i32 s20, s20, s6
	s_mul_i32 s3, s3, s23
	s_mul_hi_u32 s21, s11, s3
	s_mul_i32 s22, s11, s3
	s_mul_i32 s25, s23, s20
	s_mul_hi_u32 s3, s23, s3
	s_mul_hi_u32 s24, s23, s20
	s_add_u32 s3, s3, s25
	s_addc_u32 s24, 0, s24
	s_add_u32 s3, s3, s22
	s_mul_hi_u32 s6, s11, s20
	s_addc_u32 s3, s24, s21
	s_addc_u32 s6, s6, 0
	s_mul_i32 s20, s11, s20
	s_add_u32 s3, s3, s20
	s_addc_u32 s6, 0, s6
	s_add_u32 s3, s23, s3
	s_cselect_b64 s[20:21], -1, 0
	s_cmp_lg_u64 s[20:21], 0
	s_addc_u32 s6, s11, s6
	s_ashr_i32 s20, s1, 31
	s_add_u32 s22, s0, s20
	s_mov_b32 s21, s20
	s_addc_u32 s23, s1, s20
	s_xor_b64 s[22:23], s[22:23], s[20:21]
	s_mul_i32 s24, s22, s6
	s_mul_hi_u32 s25, s22, s3
	s_mul_hi_u32 s11, s22, s6
	s_add_u32 s24, s25, s24
	s_addc_u32 s11, 0, s11
	s_mul_hi_u32 s26, s23, s3
	s_mul_i32 s3, s23, s3
	s_add_u32 s3, s24, s3
	s_mul_hi_u32 s25, s23, s6
	s_addc_u32 s3, s11, s26
	s_addc_u32 s11, s25, 0
	s_mul_i32 s6, s23, s6
	s_add_u32 s3, s3, s6
	s_addc_u32 s6, 0, s11
	s_mul_i32 s11, s18, s6
	s_mul_hi_u32 s24, s18, s3
	s_add_i32 s11, s24, s11
	s_mul_i32 s24, s19, s3
	s_add_i32 s11, s11, s24
	s_sub_i32 s26, s23, s11
	s_mul_i32 s24, s18, s3
	s_sub_u32 s22, s22, s24
	s_cselect_b64 s[24:25], -1, 0
	s_cmp_lg_u64 s[24:25], 0
	s_subb_u32 s28, s26, s19
	s_sub_u32 s29, s22, s18
	s_cselect_b64 s[26:27], -1, 0
	s_cmp_lg_u64 s[26:27], 0
	s_subb_u32 s26, s28, 0
	s_cmp_ge_u32 s26, s19
	s_cselect_b32 s27, -1, 0
	s_cmp_ge_u32 s29, s18
	s_cselect_b32 s28, -1, 0
	s_cmp_eq_u32 s26, s19
	s_cselect_b32 s26, s28, s27
	s_add_u32 s27, s3, 1
	s_addc_u32 s28, s6, 0
	s_add_u32 s29, s3, 2
	s_addc_u32 s30, s6, 0
	s_cmp_lg_u32 s26, 0
	s_cselect_b32 s26, s29, s27
	s_cselect_b32 s27, s30, s28
	s_cmp_lg_u64 s[24:25], 0
	s_subb_u32 s11, s23, s11
	s_cmp_ge_u32 s11, s19
	s_cselect_b32 s23, -1, 0
	s_cmp_ge_u32 s22, s18
	s_cselect_b32 s18, -1, 0
	s_cmp_eq_u32 s11, s19
	s_cselect_b32 s11, s18, s23
	s_cmp_lg_u32 s11, 0
	s_cselect_b32 s19, s27, s6
	s_cselect_b32 s18, s26, s3
	s_xor_b64 s[14:15], s[20:21], s[14:15]
	s_xor_b64 s[18:19], s[18:19], s[14:15]
	s_sub_u32 s14, s18, s14
	s_load_dword s3, s[4:5], 0x44
	s_cbranch_execnz .LBB6_3
.LBB6_2:
	v_cvt_f32_u32_e32 v2, s2
	s_sub_i32 s6, 0, s2
	v_rcp_iflag_f32_e32 v2, v2
	v_mul_f32_e32 v2, 0x4f7ffffe, v2
	v_cvt_u32_f32_e32 v2, v2
	v_readfirstlane_b32 s11, v2
	s_mul_i32 s6, s6, s11
	s_mul_hi_u32 s6, s11, s6
	s_add_i32 s11, s11, s6
	s_mul_hi_u32 s6, s0, s11
	s_mul_i32 s14, s6, s2
	s_sub_i32 s14, s0, s14
	s_add_i32 s11, s6, 1
	s_sub_i32 s15, s14, s2
	s_cmp_ge_u32 s14, s2
	s_cselect_b32 s6, s11, s6
	s_cselect_b32 s14, s15, s14
	s_add_i32 s11, s6, 1
	s_cmp_ge_u32 s14, s2
	s_cselect_b32 s14, s11, s6
.LBB6_3:
	s_waitcnt lgkmcnt(0)
	s_lshr_b32 s2, s3, 16
	s_mul_i32 s7, s7, s2
	v_add_u32_e32 v7, s7, v1
	v_cmp_gt_i32_e32 vcc, s12, v7
	s_and_saveexec_b64 s[6:7], vcc
	s_cbranch_execz .LBB6_15
; %bb.4:
	s_load_dword s21, s[4:5], 0x3c
	s_load_dwordx4 s[16:19], s[4:5], 0x0
	s_load_dwordx2 s[6:7], s[4:5], 0x10
	s_mul_i32 s4, s9, s8
	s_mul_i32 s4, s4, s10
	s_mul_i32 s4, s4, s14
	s_ashr_i32 s5, s4, 31
	s_lshl_b64 s[4:5], s[4:5], 1
	s_waitcnt lgkmcnt(0)
	s_add_u32 s16, s16, s4
	s_addc_u32 s8, s17, s5
	s_mul_i32 s5, s13, s12
	s_mul_hi_i32 s4, s13, s12
	s_mul_i32 s1, s5, s1
	s_mul_hi_u32 s9, s5, s0
	s_add_i32 s1, s9, s1
	s_mul_i32 s4, s4, s0
	s_add_i32 s1, s1, s4
	s_mul_i32 s0, s5, s0
	s_lshl_b64 s[4:5], s[0:1], 1
	s_add_u32 s17, s18, s4
	s_addc_u32 s18, s19, s5
	s_lshl_b64 s[0:1], s[0:1], 3
	s_add_u32 s19, s6, s0
	s_addc_u32 s20, s7, s1
	s_mul_i32 s21, s21, s2
	s_and_b32 s22, s3, 0xffff
	v_cmp_gt_i32_e64 s[0:1], s13, v0
	s_mov_b64 s[6:7], 0
	v_mov_b32_e32 v2, 0
	v_mov_b32_e32 v8, s8
	s_mov_b32 s23, 0xffff0000
	s_branch .LBB6_6
.LBB6_5:                                ;   in Loop: Header=BB6_6 Depth=1
	s_or_b64 exec, exec, s[8:9]
	v_add_u32_e32 v7, s21, v7
	v_cmp_le_i32_e32 vcc, s12, v7
	s_or_b64 s[6:7], vcc, s[6:7]
	s_andn2_b64 exec, exec, s[6:7]
	s_cbranch_execz .LBB6_15
.LBB6_6:                                ; =>This Loop Header: Depth=1
                                        ;     Child Loop BB6_9 Depth 2
                                        ;       Child Loop BB6_11 Depth 3
	s_and_saveexec_b64 s[8:9], s[0:1]
	s_cbranch_execz .LBB6_5
; %bb.7:                                ;   in Loop: Header=BB6_6 Depth=1
	v_mul_lo_u32 v3, v7, s13
	v_mov_b32_e32 v1, s18
	s_mov_b64 s[10:11], 0
	v_ashrrev_i32_e32 v4, 31, v3
	v_lshlrev_b64 v[5:6], 1, v[3:4]
	v_lshlrev_b64 v[3:4], 3, v[3:4]
	v_add_co_u32_e32 v9, vcc, s17, v5
	v_addc_co_u32_e32 v10, vcc, v1, v6, vcc
	v_mov_b32_e32 v1, s20
	v_add_co_u32_e32 v11, vcc, s19, v3
	v_addc_co_u32_e32 v12, vcc, v1, v4, vcc
	v_mov_b32_e32 v1, v0
	s_branch .LBB6_9
.LBB6_8:                                ;   in Loop: Header=BB6_9 Depth=2
	s_or_b64 exec, exec, s[14:15]
	v_add_u32_e32 v1, s22, v1
	v_cmp_le_i32_e32 vcc, s13, v1
	s_or_b64 s[10:11], vcc, s[10:11]
	s_andn2_b64 exec, exec, s[10:11]
	s_cbranch_execz .LBB6_5
.LBB6_9:                                ;   Parent Loop BB6_6 Depth=1
                                        ; =>  This Loop Header: Depth=2
                                        ;       Child Loop BB6_11 Depth 3
	v_lshlrev_b64 v[3:4], 3, v[1:2]
	v_lshlrev_b64 v[5:6], 1, v[1:2]
	v_add_co_u32_e32 v3, vcc, v11, v3
	v_addc_co_u32_e32 v4, vcc, v12, v4, vcc
	global_load_dwordx2 v[3:4], v[3:4], off
	v_add_co_u32_e32 v5, vcc, v9, v5
	v_addc_co_u32_e32 v6, vcc, v10, v6, vcc
	global_load_ushort v13, v[5:6], off
	v_mov_b32_e32 v15, v2
	s_mov_b64 s[14:15], 0
	s_waitcnt vmcnt(1)
	v_lshlrev_b64 v[3:4], 1, v[3:4]
	v_add_co_u32_e32 v3, vcc, s16, v3
	v_addc_co_u32_e32 v4, vcc, v8, v4, vcc
	v_and_b32_e32 v14, 2, v3
	v_sub_co_u32_e32 v5, vcc, 0, v14
	v_subb_co_u32_e64 v6, s[2:3], 0, 0, vcc
	v_add_co_u32_e32 v3, vcc, v3, v5
	v_addc_co_u32_e32 v4, vcc, v4, v6, vcc
	global_load_dword v6, v[3:4], off
	v_cmp_eq_u64_e32 vcc, 0, v[14:15]
	v_cmp_ne_u32_e64 s[2:3], 0, v14
	s_branch .LBB6_11
.LBB6_10:                               ;   in Loop: Header=BB6_11 Depth=3
	s_or_b64 exec, exec, s[4:5]
	global_atomic_cmpswap v5, v[3:4], v[5:6], off glc
	s_waitcnt vmcnt(0)
	v_cmp_eq_u32_e64 s[4:5], v6, v5
	s_or_b64 s[14:15], s[4:5], s[14:15]
	v_mov_b32_e32 v6, v5
	s_andn2_b64 exec, exec, s[14:15]
	s_cbranch_execz .LBB6_8
.LBB6_11:                               ;   Parent Loop BB6_6 Depth=1
                                        ;     Parent Loop BB6_9 Depth=2
                                        ; =>    This Inner Loop Header: Depth=3
	s_waitcnt vmcnt(0)
	v_cndmask_b32_sdwa v5, v6, v6, vcc dst_sel:DWORD dst_unused:UNUSED_PAD src0_sel:WORD_1 src1_sel:DWORD
	v_add_f16_e32 v14, v13, v5
	s_and_saveexec_b64 s[4:5], s[2:3]
	s_xor_b64 s[4:5], exec, s[4:5]
; %bb.12:                               ;   in Loop: Header=BB6_11 Depth=3
	v_and_b32_e32 v5, 0xffff, v6
	v_lshl_or_b32 v5, v14, 16, v5
                                        ; implicit-def: $vgpr14
; %bb.13:                               ;   in Loop: Header=BB6_11 Depth=3
	s_andn2_saveexec_b64 s[4:5], s[4:5]
	s_cbranch_execz .LBB6_10
; %bb.14:                               ;   in Loop: Header=BB6_11 Depth=3
	v_and_or_b32 v5, v6, s23, v14
	s_branch .LBB6_10
.LBB6_15:
	s_endpgm
.LBB6_16:
                                        ; implicit-def: $sgpr14_sgpr15
	s_load_dword s3, s[4:5], 0x44
	s_branch .LBB6_2
	.section	.rodata,"a",@progbits
	.p2align	6, 0x0
	.amdhsa_kernel _ZN2at6native12_GLOBAL__N_126atomicadaptivemaxgradinputIN3c104HalfEEEvPT_PKS5_PKliiiiiil
		.amdhsa_group_segment_fixed_size 0
		.amdhsa_private_segment_fixed_size 0
		.amdhsa_kernarg_size 312
		.amdhsa_user_sgpr_count 6
		.amdhsa_user_sgpr_private_segment_buffer 1
		.amdhsa_user_sgpr_dispatch_ptr 0
		.amdhsa_user_sgpr_queue_ptr 0
		.amdhsa_user_sgpr_kernarg_segment_ptr 1
		.amdhsa_user_sgpr_dispatch_id 0
		.amdhsa_user_sgpr_flat_scratch_init 0
		.amdhsa_user_sgpr_private_segment_size 0
		.amdhsa_uses_dynamic_stack 0
		.amdhsa_system_sgpr_private_segment_wavefront_offset 0
		.amdhsa_system_sgpr_workgroup_id_x 1
		.amdhsa_system_sgpr_workgroup_id_y 1
		.amdhsa_system_sgpr_workgroup_id_z 0
		.amdhsa_system_sgpr_workgroup_info 0
		.amdhsa_system_vgpr_workitem_id 1
		.amdhsa_next_free_vgpr 16
		.amdhsa_next_free_sgpr 31
		.amdhsa_reserve_vcc 1
		.amdhsa_reserve_flat_scratch 0
		.amdhsa_float_round_mode_32 0
		.amdhsa_float_round_mode_16_64 0
		.amdhsa_float_denorm_mode_32 3
		.amdhsa_float_denorm_mode_16_64 3
		.amdhsa_dx10_clamp 1
		.amdhsa_ieee_mode 1
		.amdhsa_fp16_overflow 0
		.amdhsa_exception_fp_ieee_invalid_op 0
		.amdhsa_exception_fp_denorm_src 0
		.amdhsa_exception_fp_ieee_div_zero 0
		.amdhsa_exception_fp_ieee_overflow 0
		.amdhsa_exception_fp_ieee_underflow 0
		.amdhsa_exception_fp_ieee_inexact 0
		.amdhsa_exception_int_div_zero 0
	.end_amdhsa_kernel
	.section	.text._ZN2at6native12_GLOBAL__N_126atomicadaptivemaxgradinputIN3c104HalfEEEvPT_PKS5_PKliiiiiil,"axG",@progbits,_ZN2at6native12_GLOBAL__N_126atomicadaptivemaxgradinputIN3c104HalfEEEvPT_PKS5_PKliiiiiil,comdat
.Lfunc_end6:
	.size	_ZN2at6native12_GLOBAL__N_126atomicadaptivemaxgradinputIN3c104HalfEEEvPT_PKS5_PKliiiiiil, .Lfunc_end6-_ZN2at6native12_GLOBAL__N_126atomicadaptivemaxgradinputIN3c104HalfEEEvPT_PKS5_PKliiiiiil
                                        ; -- End function
	.set _ZN2at6native12_GLOBAL__N_126atomicadaptivemaxgradinputIN3c104HalfEEEvPT_PKS5_PKliiiiiil.num_vgpr, 16
	.set _ZN2at6native12_GLOBAL__N_126atomicadaptivemaxgradinputIN3c104HalfEEEvPT_PKS5_PKliiiiiil.num_agpr, 0
	.set _ZN2at6native12_GLOBAL__N_126atomicadaptivemaxgradinputIN3c104HalfEEEvPT_PKS5_PKliiiiiil.numbered_sgpr, 31
	.set _ZN2at6native12_GLOBAL__N_126atomicadaptivemaxgradinputIN3c104HalfEEEvPT_PKS5_PKliiiiiil.num_named_barrier, 0
	.set _ZN2at6native12_GLOBAL__N_126atomicadaptivemaxgradinputIN3c104HalfEEEvPT_PKS5_PKliiiiiil.private_seg_size, 0
	.set _ZN2at6native12_GLOBAL__N_126atomicadaptivemaxgradinputIN3c104HalfEEEvPT_PKS5_PKliiiiiil.uses_vcc, 1
	.set _ZN2at6native12_GLOBAL__N_126atomicadaptivemaxgradinputIN3c104HalfEEEvPT_PKS5_PKliiiiiil.uses_flat_scratch, 0
	.set _ZN2at6native12_GLOBAL__N_126atomicadaptivemaxgradinputIN3c104HalfEEEvPT_PKS5_PKliiiiiil.has_dyn_sized_stack, 0
	.set _ZN2at6native12_GLOBAL__N_126atomicadaptivemaxgradinputIN3c104HalfEEEvPT_PKS5_PKliiiiiil.has_recursion, 0
	.set _ZN2at6native12_GLOBAL__N_126atomicadaptivemaxgradinputIN3c104HalfEEEvPT_PKS5_PKliiiiiil.has_indirect_call, 0
	.section	.AMDGPU.csdata,"",@progbits
; Kernel info:
; codeLenInByte = 1224
; TotalNumSgprs: 35
; NumVgprs: 16
; ScratchSize: 0
; MemoryBound: 0
; FloatMode: 240
; IeeeMode: 1
; LDSByteSize: 0 bytes/workgroup (compile time only)
; SGPRBlocks: 4
; VGPRBlocks: 3
; NumSGPRsForWavesPerEU: 35
; NumVGPRsForWavesPerEU: 16
; Occupancy: 10
; WaveLimiterHint : 1
; COMPUTE_PGM_RSRC2:SCRATCH_EN: 0
; COMPUTE_PGM_RSRC2:USER_SGPR: 6
; COMPUTE_PGM_RSRC2:TRAP_HANDLER: 0
; COMPUTE_PGM_RSRC2:TGID_X_EN: 1
; COMPUTE_PGM_RSRC2:TGID_Y_EN: 1
; COMPUTE_PGM_RSRC2:TGID_Z_EN: 0
; COMPUTE_PGM_RSRC2:TIDIG_COMP_CNT: 1
	.section	.text._ZN2at6native12_GLOBAL__N_126atomicadaptivemaxgradinputIN3c108BFloat16EEEvPT_PKS5_PKliiiiiil,"axG",@progbits,_ZN2at6native12_GLOBAL__N_126atomicadaptivemaxgradinputIN3c108BFloat16EEEvPT_PKS5_PKliiiiiil,comdat
	.globl	_ZN2at6native12_GLOBAL__N_126atomicadaptivemaxgradinputIN3c108BFloat16EEEvPT_PKS5_PKliiiiiil ; -- Begin function _ZN2at6native12_GLOBAL__N_126atomicadaptivemaxgradinputIN3c108BFloat16EEEvPT_PKS5_PKliiiiiil
	.p2align	8
	.type	_ZN2at6native12_GLOBAL__N_126atomicadaptivemaxgradinputIN3c108BFloat16EEEvPT_PKS5_PKliiiiiil,@function
_ZN2at6native12_GLOBAL__N_126atomicadaptivemaxgradinputIN3c108BFloat16EEEvPT_PKS5_PKliiiiiil: ; @_ZN2at6native12_GLOBAL__N_126atomicadaptivemaxgradinputIN3c108BFloat16EEEvPT_PKS5_PKliiiiiil
; %bb.0:
	s_load_dwordx8 s[8:15], s[4:5], 0x18
	s_mov_b32 s16, 0
	s_waitcnt lgkmcnt(0)
	s_add_u32 s0, s14, s6
	s_addc_u32 s1, s15, 0
	s_ashr_i32 s3, s11, 31
	s_mov_b32 s2, s11
	s_or_b64 s[14:15], s[0:1], s[2:3]
	s_mov_b32 s17, s15
	s_cmp_lg_u64 s[16:17], 0
	s_cbranch_scc0 .LBB7_12
; %bb.1:
	s_ashr_i32 s14, s3, 31
	s_add_u32 s16, s2, s14
	s_mov_b32 s15, s14
	s_addc_u32 s17, s3, s14
	s_xor_b64 s[18:19], s[16:17], s[14:15]
	v_cvt_f32_u32_e32 v2, s18
	v_cvt_f32_u32_e32 v3, s19
	s_sub_u32 s3, 0, s18
	s_subb_u32 s6, 0, s19
	v_madmk_f32 v2, v3, 0x4f800000, v2
	v_rcp_f32_e32 v2, v2
	v_mul_f32_e32 v2, 0x5f7ffffc, v2
	v_mul_f32_e32 v3, 0x2f800000, v2
	v_trunc_f32_e32 v3, v3
	v_madmk_f32 v2, v3, 0xcf800000, v2
	v_cvt_u32_f32_e32 v3, v3
	v_cvt_u32_f32_e32 v2, v2
	v_readfirstlane_b32 s11, v3
	v_readfirstlane_b32 s20, v2
	s_mul_i32 s21, s3, s11
	s_mul_hi_u32 s23, s3, s20
	s_mul_i32 s22, s6, s20
	s_add_i32 s21, s23, s21
	s_add_i32 s21, s21, s22
	s_mul_i32 s24, s3, s20
	s_mul_i32 s23, s20, s21
	s_mul_hi_u32 s25, s20, s24
	s_mul_hi_u32 s22, s20, s21
	s_add_u32 s23, s25, s23
	s_addc_u32 s22, 0, s22
	s_mul_hi_u32 s26, s11, s24
	s_mul_i32 s24, s11, s24
	s_add_u32 s23, s23, s24
	s_mul_hi_u32 s25, s11, s21
	s_addc_u32 s22, s22, s26
	s_addc_u32 s23, s25, 0
	s_mul_i32 s21, s11, s21
	s_add_u32 s21, s22, s21
	s_addc_u32 s22, 0, s23
	s_add_u32 s23, s20, s21
	s_cselect_b64 s[20:21], -1, 0
	s_cmp_lg_u64 s[20:21], 0
	s_addc_u32 s11, s11, s22
	s_mul_i32 s20, s3, s11
	s_mul_hi_u32 s21, s3, s23
	s_add_i32 s20, s21, s20
	s_mul_i32 s6, s6, s23
	s_add_i32 s20, s20, s6
	s_mul_i32 s3, s3, s23
	s_mul_hi_u32 s21, s11, s3
	s_mul_i32 s22, s11, s3
	s_mul_i32 s25, s23, s20
	s_mul_hi_u32 s3, s23, s3
	s_mul_hi_u32 s24, s23, s20
	s_add_u32 s3, s3, s25
	s_addc_u32 s24, 0, s24
	s_add_u32 s3, s3, s22
	s_mul_hi_u32 s6, s11, s20
	s_addc_u32 s3, s24, s21
	s_addc_u32 s6, s6, 0
	s_mul_i32 s20, s11, s20
	s_add_u32 s3, s3, s20
	s_addc_u32 s6, 0, s6
	s_add_u32 s3, s23, s3
	s_cselect_b64 s[20:21], -1, 0
	s_cmp_lg_u64 s[20:21], 0
	s_addc_u32 s6, s11, s6
	s_ashr_i32 s20, s1, 31
	s_add_u32 s22, s0, s20
	s_mov_b32 s21, s20
	s_addc_u32 s23, s1, s20
	s_xor_b64 s[22:23], s[22:23], s[20:21]
	s_mul_i32 s24, s22, s6
	s_mul_hi_u32 s25, s22, s3
	s_mul_hi_u32 s11, s22, s6
	s_add_u32 s24, s25, s24
	s_addc_u32 s11, 0, s11
	s_mul_hi_u32 s26, s23, s3
	s_mul_i32 s3, s23, s3
	s_add_u32 s3, s24, s3
	s_mul_hi_u32 s25, s23, s6
	s_addc_u32 s3, s11, s26
	s_addc_u32 s11, s25, 0
	s_mul_i32 s6, s23, s6
	s_add_u32 s3, s3, s6
	s_addc_u32 s6, 0, s11
	s_mul_i32 s11, s18, s6
	s_mul_hi_u32 s24, s18, s3
	s_add_i32 s11, s24, s11
	s_mul_i32 s24, s19, s3
	s_add_i32 s11, s11, s24
	s_sub_i32 s26, s23, s11
	s_mul_i32 s24, s18, s3
	s_sub_u32 s22, s22, s24
	s_cselect_b64 s[24:25], -1, 0
	s_cmp_lg_u64 s[24:25], 0
	s_subb_u32 s28, s26, s19
	s_sub_u32 s29, s22, s18
	s_cselect_b64 s[26:27], -1, 0
	s_cmp_lg_u64 s[26:27], 0
	s_subb_u32 s26, s28, 0
	s_cmp_ge_u32 s26, s19
	s_cselect_b32 s27, -1, 0
	s_cmp_ge_u32 s29, s18
	s_cselect_b32 s28, -1, 0
	s_cmp_eq_u32 s26, s19
	s_cselect_b32 s26, s28, s27
	s_add_u32 s27, s3, 1
	s_addc_u32 s28, s6, 0
	s_add_u32 s29, s3, 2
	s_addc_u32 s30, s6, 0
	s_cmp_lg_u32 s26, 0
	s_cselect_b32 s26, s29, s27
	s_cselect_b32 s27, s30, s28
	s_cmp_lg_u64 s[24:25], 0
	s_subb_u32 s11, s23, s11
	s_cmp_ge_u32 s11, s19
	s_cselect_b32 s23, -1, 0
	s_cmp_ge_u32 s22, s18
	s_cselect_b32 s18, -1, 0
	s_cmp_eq_u32 s11, s19
	s_cselect_b32 s11, s18, s23
	s_cmp_lg_u32 s11, 0
	s_cselect_b32 s19, s27, s6
	s_cselect_b32 s18, s26, s3
	s_xor_b64 s[14:15], s[20:21], s[14:15]
	s_xor_b64 s[18:19], s[18:19], s[14:15]
	s_sub_u32 s14, s18, s14
	s_load_dword s3, s[4:5], 0x44
	s_cbranch_execnz .LBB7_3
.LBB7_2:
	v_cvt_f32_u32_e32 v2, s2
	s_sub_i32 s6, 0, s2
	v_rcp_iflag_f32_e32 v2, v2
	v_mul_f32_e32 v2, 0x4f7ffffe, v2
	v_cvt_u32_f32_e32 v2, v2
	v_readfirstlane_b32 s11, v2
	s_mul_i32 s6, s6, s11
	s_mul_hi_u32 s6, s11, s6
	s_add_i32 s11, s11, s6
	s_mul_hi_u32 s6, s0, s11
	s_mul_i32 s14, s6, s2
	s_sub_i32 s14, s0, s14
	s_add_i32 s11, s6, 1
	s_sub_i32 s15, s14, s2
	s_cmp_ge_u32 s14, s2
	s_cselect_b32 s6, s11, s6
	s_cselect_b32 s14, s15, s14
	s_add_i32 s11, s6, 1
	s_cmp_ge_u32 s14, s2
	s_cselect_b32 s14, s11, s6
.LBB7_3:
	s_waitcnt lgkmcnt(0)
	s_lshr_b32 s2, s3, 16
	s_mul_i32 s7, s7, s2
	v_add_u32_e32 v7, s7, v1
	v_cmp_gt_i32_e32 vcc, s12, v7
	s_and_saveexec_b64 s[6:7], vcc
	s_cbranch_execz .LBB7_11
; %bb.4:
	s_load_dword s11, s[4:5], 0x3c
	s_load_dwordx4 s[16:19], s[4:5], 0x0
	s_load_dwordx2 s[6:7], s[4:5], 0x10
	s_mul_i32 s4, s9, s8
	s_mul_i32 s4, s4, s10
	;; [unrolled: 1-line block ×3, first 2 shown]
	s_ashr_i32 s5, s4, 31
	s_lshl_b64 s[4:5], s[4:5], 1
	s_waitcnt lgkmcnt(0)
	s_add_u32 s14, s16, s4
	s_addc_u32 s8, s17, s5
	s_mul_i32 s5, s13, s12
	s_mul_hi_i32 s4, s13, s12
	s_mul_i32 s1, s5, s1
	s_mul_hi_u32 s9, s5, s0
	s_add_i32 s1, s9, s1
	s_mul_i32 s4, s4, s0
	s_add_i32 s1, s1, s4
	s_mul_i32 s0, s5, s0
	s_lshl_b64 s[4:5], s[0:1], 1
	s_add_u32 s15, s18, s4
	s_addc_u32 s16, s19, s5
	s_lshl_b64 s[0:1], s[0:1], 3
	s_add_u32 s17, s6, s0
	s_addc_u32 s18, s7, s1
	s_mul_i32 s19, s11, s2
	s_and_b32 s20, s3, 0xffff
	v_cmp_gt_i32_e64 s[0:1], s13, v0
	s_mov_b64 s[4:5], 0
	v_mov_b32_e32 v2, 0
	v_mov_b32_e32 v8, s8
	s_movk_i32 s21, 0x7fff
	s_mov_b32 s22, 0xffff0000
	v_mov_b32_e32 v9, 0x7fc0
	s_branch .LBB7_6
.LBB7_5:                                ;   in Loop: Header=BB7_6 Depth=1
	s_or_b64 exec, exec, s[6:7]
	v_add_u32_e32 v7, s19, v7
	v_cmp_le_i32_e32 vcc, s12, v7
	s_or_b64 s[4:5], vcc, s[4:5]
	s_andn2_b64 exec, exec, s[4:5]
	s_cbranch_execz .LBB7_11
.LBB7_6:                                ; =>This Loop Header: Depth=1
                                        ;     Child Loop BB7_8 Depth 2
                                        ;       Child Loop BB7_9 Depth 3
	s_and_saveexec_b64 s[6:7], s[0:1]
	s_cbranch_execz .LBB7_5
; %bb.7:                                ;   in Loop: Header=BB7_6 Depth=1
	v_mul_lo_u32 v3, v7, s13
	v_mov_b32_e32 v1, s16
	s_mov_b64 s[8:9], 0
	v_ashrrev_i32_e32 v4, 31, v3
	v_lshlrev_b64 v[5:6], 1, v[3:4]
	v_lshlrev_b64 v[3:4], 3, v[3:4]
	v_add_co_u32_e32 v10, vcc, s15, v5
	v_addc_co_u32_e32 v11, vcc, v1, v6, vcc
	v_mov_b32_e32 v1, s18
	v_add_co_u32_e32 v12, vcc, s17, v3
	v_addc_co_u32_e32 v13, vcc, v1, v4, vcc
	v_mov_b32_e32 v1, v0
.LBB7_8:                                ;   Parent Loop BB7_6 Depth=1
                                        ; =>  This Loop Header: Depth=2
                                        ;       Child Loop BB7_9 Depth 3
	v_lshlrev_b64 v[3:4], 3, v[1:2]
	v_lshlrev_b64 v[5:6], 1, v[1:2]
	v_add_co_u32_e32 v3, vcc, v12, v3
	v_addc_co_u32_e32 v4, vcc, v13, v4, vcc
	global_load_dwordx2 v[3:4], v[3:4], off
	v_add_co_u32_e32 v5, vcc, v10, v5
	v_addc_co_u32_e32 v6, vcc, v11, v6, vcc
	global_load_ushort v5, v[5:6], off
	s_mov_b64 s[10:11], 0
	s_waitcnt vmcnt(1)
	v_lshlrev_b64 v[3:4], 1, v[3:4]
	v_add_co_u32_e32 v3, vcc, s14, v3
	v_addc_co_u32_e32 v4, vcc, v8, v4, vcc
	v_and_b32_e32 v14, 2, v3
	v_sub_co_u32_e32 v6, vcc, 0, v14
	v_subb_co_u32_e64 v15, s[2:3], 0, 0, vcc
	v_add_co_u32_e32 v3, vcc, v3, v6
	v_addc_co_u32_e32 v4, vcc, v4, v15, vcc
	global_load_dword v6, v[3:4], off
	v_mov_b32_e32 v15, v2
	v_cmp_eq_u64_e64 s[2:3], 0, v[14:15]
	s_waitcnt vmcnt(1)
	v_lshlrev_b32_e32 v14, 16, v5
.LBB7_9:                                ;   Parent Loop BB7_6 Depth=1
                                        ;     Parent Loop BB7_8 Depth=2
                                        ; =>    This Inner Loop Header: Depth=3
	s_mov_b64 vcc, s[2:3]
	s_waitcnt vmcnt(0)
	v_and_b32_e32 v5, 0xffff, v6
	v_cndmask_b32_sdwa v15, v6, v5, vcc dst_sel:WORD_1 dst_unused:UNUSED_PAD src0_sel:WORD_1 src1_sel:DWORD
	v_add_f32_e32 v15, v14, v15
	v_bfe_u32 v16, v15, 16, 1
	v_cmp_o_f32_e32 vcc, v15, v15
	v_add3_u32 v15, v15, v16, s21
	v_cndmask_b32_sdwa v15, v9, v15, vcc dst_sel:DWORD dst_unused:UNUSED_PAD src0_sel:DWORD src1_sel:WORD_1
	v_lshl_or_b32 v5, v15, 16, v5
	v_and_or_b32 v15, v6, s22, v15
	v_cndmask_b32_e64 v5, v5, v15, s[2:3]
	global_atomic_cmpswap v5, v[3:4], v[5:6], off glc
	s_waitcnt vmcnt(0)
	v_cmp_eq_u32_e32 vcc, v6, v5
	s_or_b64 s[10:11], vcc, s[10:11]
	v_mov_b32_e32 v6, v5
	s_andn2_b64 exec, exec, s[10:11]
	s_cbranch_execnz .LBB7_9
; %bb.10:                               ;   in Loop: Header=BB7_8 Depth=2
	s_or_b64 exec, exec, s[10:11]
	v_add_u32_e32 v1, s20, v1
	v_cmp_le_i32_e32 vcc, s13, v1
	s_or_b64 s[8:9], vcc, s[8:9]
	s_andn2_b64 exec, exec, s[8:9]
	s_cbranch_execnz .LBB7_8
	s_branch .LBB7_5
.LBB7_11:
	s_endpgm
.LBB7_12:
                                        ; implicit-def: $sgpr14_sgpr15
	s_load_dword s3, s[4:5], 0x44
	s_branch .LBB7_2
	.section	.rodata,"a",@progbits
	.p2align	6, 0x0
	.amdhsa_kernel _ZN2at6native12_GLOBAL__N_126atomicadaptivemaxgradinputIN3c108BFloat16EEEvPT_PKS5_PKliiiiiil
		.amdhsa_group_segment_fixed_size 0
		.amdhsa_private_segment_fixed_size 0
		.amdhsa_kernarg_size 312
		.amdhsa_user_sgpr_count 6
		.amdhsa_user_sgpr_private_segment_buffer 1
		.amdhsa_user_sgpr_dispatch_ptr 0
		.amdhsa_user_sgpr_queue_ptr 0
		.amdhsa_user_sgpr_kernarg_segment_ptr 1
		.amdhsa_user_sgpr_dispatch_id 0
		.amdhsa_user_sgpr_flat_scratch_init 0
		.amdhsa_user_sgpr_private_segment_size 0
		.amdhsa_uses_dynamic_stack 0
		.amdhsa_system_sgpr_private_segment_wavefront_offset 0
		.amdhsa_system_sgpr_workgroup_id_x 1
		.amdhsa_system_sgpr_workgroup_id_y 1
		.amdhsa_system_sgpr_workgroup_id_z 0
		.amdhsa_system_sgpr_workgroup_info 0
		.amdhsa_system_vgpr_workitem_id 1
		.amdhsa_next_free_vgpr 17
		.amdhsa_next_free_sgpr 31
		.amdhsa_reserve_vcc 1
		.amdhsa_reserve_flat_scratch 0
		.amdhsa_float_round_mode_32 0
		.amdhsa_float_round_mode_16_64 0
		.amdhsa_float_denorm_mode_32 3
		.amdhsa_float_denorm_mode_16_64 3
		.amdhsa_dx10_clamp 1
		.amdhsa_ieee_mode 1
		.amdhsa_fp16_overflow 0
		.amdhsa_exception_fp_ieee_invalid_op 0
		.amdhsa_exception_fp_denorm_src 0
		.amdhsa_exception_fp_ieee_div_zero 0
		.amdhsa_exception_fp_ieee_overflow 0
		.amdhsa_exception_fp_ieee_underflow 0
		.amdhsa_exception_fp_ieee_inexact 0
		.amdhsa_exception_int_div_zero 0
	.end_amdhsa_kernel
	.section	.text._ZN2at6native12_GLOBAL__N_126atomicadaptivemaxgradinputIN3c108BFloat16EEEvPT_PKS5_PKliiiiiil,"axG",@progbits,_ZN2at6native12_GLOBAL__N_126atomicadaptivemaxgradinputIN3c108BFloat16EEEvPT_PKS5_PKliiiiiil,comdat
.Lfunc_end7:
	.size	_ZN2at6native12_GLOBAL__N_126atomicadaptivemaxgradinputIN3c108BFloat16EEEvPT_PKS5_PKliiiiiil, .Lfunc_end7-_ZN2at6native12_GLOBAL__N_126atomicadaptivemaxgradinputIN3c108BFloat16EEEvPT_PKS5_PKliiiiiil
                                        ; -- End function
	.set _ZN2at6native12_GLOBAL__N_126atomicadaptivemaxgradinputIN3c108BFloat16EEEvPT_PKS5_PKliiiiiil.num_vgpr, 17
	.set _ZN2at6native12_GLOBAL__N_126atomicadaptivemaxgradinputIN3c108BFloat16EEEvPT_PKS5_PKliiiiiil.num_agpr, 0
	.set _ZN2at6native12_GLOBAL__N_126atomicadaptivemaxgradinputIN3c108BFloat16EEEvPT_PKS5_PKliiiiiil.numbered_sgpr, 31
	.set _ZN2at6native12_GLOBAL__N_126atomicadaptivemaxgradinputIN3c108BFloat16EEEvPT_PKS5_PKliiiiiil.num_named_barrier, 0
	.set _ZN2at6native12_GLOBAL__N_126atomicadaptivemaxgradinputIN3c108BFloat16EEEvPT_PKS5_PKliiiiiil.private_seg_size, 0
	.set _ZN2at6native12_GLOBAL__N_126atomicadaptivemaxgradinputIN3c108BFloat16EEEvPT_PKS5_PKliiiiiil.uses_vcc, 1
	.set _ZN2at6native12_GLOBAL__N_126atomicadaptivemaxgradinputIN3c108BFloat16EEEvPT_PKS5_PKliiiiiil.uses_flat_scratch, 0
	.set _ZN2at6native12_GLOBAL__N_126atomicadaptivemaxgradinputIN3c108BFloat16EEEvPT_PKS5_PKliiiiiil.has_dyn_sized_stack, 0
	.set _ZN2at6native12_GLOBAL__N_126atomicadaptivemaxgradinputIN3c108BFloat16EEEvPT_PKS5_PKliiiiiil.has_recursion, 0
	.set _ZN2at6native12_GLOBAL__N_126atomicadaptivemaxgradinputIN3c108BFloat16EEEvPT_PKS5_PKliiiiiil.has_indirect_call, 0
	.section	.AMDGPU.csdata,"",@progbits
; Kernel info:
; codeLenInByte = 1248
; TotalNumSgprs: 35
; NumVgprs: 17
; ScratchSize: 0
; MemoryBound: 0
; FloatMode: 240
; IeeeMode: 1
; LDSByteSize: 0 bytes/workgroup (compile time only)
; SGPRBlocks: 4
; VGPRBlocks: 4
; NumSGPRsForWavesPerEU: 35
; NumVGPRsForWavesPerEU: 17
; Occupancy: 10
; WaveLimiterHint : 1
; COMPUTE_PGM_RSRC2:SCRATCH_EN: 0
; COMPUTE_PGM_RSRC2:USER_SGPR: 6
; COMPUTE_PGM_RSRC2:TRAP_HANDLER: 0
; COMPUTE_PGM_RSRC2:TGID_X_EN: 1
; COMPUTE_PGM_RSRC2:TGID_Y_EN: 1
; COMPUTE_PGM_RSRC2:TGID_Z_EN: 0
; COMPUTE_PGM_RSRC2:TIDIG_COMP_CNT: 1
	.section	.text._ZN2at6native12_GLOBAL__N_120adaptivemaxgradinputIdEEvPT_PKS3_PKliiiiiil,"axG",@progbits,_ZN2at6native12_GLOBAL__N_120adaptivemaxgradinputIdEEvPT_PKS3_PKliiiiiil,comdat
	.globl	_ZN2at6native12_GLOBAL__N_120adaptivemaxgradinputIdEEvPT_PKS3_PKliiiiiil ; -- Begin function _ZN2at6native12_GLOBAL__N_120adaptivemaxgradinputIdEEvPT_PKS3_PKliiiiiil
	.p2align	8
	.type	_ZN2at6native12_GLOBAL__N_120adaptivemaxgradinputIdEEvPT_PKS3_PKliiiiiil,@function
_ZN2at6native12_GLOBAL__N_120adaptivemaxgradinputIdEEvPT_PKS3_PKliiiiiil: ; @_ZN2at6native12_GLOBAL__N_120adaptivemaxgradinputIdEEvPT_PKS3_PKliiiiiil
; %bb.0:
	s_load_dwordx8 s[8:15], s[4:5], 0x18
	s_mov_b32 s2, 0
	s_waitcnt lgkmcnt(0)
	s_add_u32 s14, s14, s6
	s_addc_u32 s15, s15, 0
	s_ashr_i32 s1, s11, 31
	s_mov_b32 s0, s11
	s_or_b64 s[16:17], s[14:15], s[0:1]
	s_mov_b32 s3, s17
	s_cmp_lg_u64 s[2:3], 0
	s_cbranch_scc0 .LBB8_10
; %bb.1:
	s_ashr_i32 s2, s1, 31
	s_add_u32 s16, s0, s2
	s_mov_b32 s3, s2
	s_addc_u32 s17, s1, s2
	s_xor_b64 s[18:19], s[16:17], s[2:3]
	v_cvt_f32_u32_e32 v2, s18
	v_cvt_f32_u32_e32 v3, s19
	s_sub_u32 s1, 0, s18
	s_subb_u32 s6, 0, s19
	v_madmk_f32 v2, v3, 0x4f800000, v2
	v_rcp_f32_e32 v2, v2
	v_mul_f32_e32 v2, 0x5f7ffffc, v2
	v_mul_f32_e32 v3, 0x2f800000, v2
	v_trunc_f32_e32 v3, v3
	v_madmk_f32 v2, v3, 0xcf800000, v2
	v_cvt_u32_f32_e32 v3, v3
	v_cvt_u32_f32_e32 v2, v2
	v_readfirstlane_b32 s11, v3
	v_readfirstlane_b32 s20, v2
	s_mul_i32 s21, s1, s11
	s_mul_hi_u32 s23, s1, s20
	s_mul_i32 s22, s6, s20
	s_add_i32 s21, s23, s21
	s_add_i32 s21, s21, s22
	s_mul_i32 s24, s1, s20
	s_mul_i32 s23, s20, s21
	s_mul_hi_u32 s25, s20, s24
	s_mul_hi_u32 s22, s20, s21
	s_add_u32 s23, s25, s23
	s_addc_u32 s22, 0, s22
	s_mul_hi_u32 s26, s11, s24
	s_mul_i32 s24, s11, s24
	s_add_u32 s23, s23, s24
	s_mul_hi_u32 s25, s11, s21
	s_addc_u32 s22, s22, s26
	s_addc_u32 s23, s25, 0
	s_mul_i32 s21, s11, s21
	s_add_u32 s21, s22, s21
	s_addc_u32 s22, 0, s23
	s_add_u32 s23, s20, s21
	s_cselect_b64 s[20:21], -1, 0
	s_cmp_lg_u64 s[20:21], 0
	s_addc_u32 s11, s11, s22
	s_mul_i32 s20, s1, s11
	s_mul_hi_u32 s21, s1, s23
	s_add_i32 s20, s21, s20
	s_mul_i32 s6, s6, s23
	s_add_i32 s20, s20, s6
	s_mul_i32 s1, s1, s23
	s_mul_hi_u32 s21, s11, s1
	s_mul_i32 s22, s11, s1
	s_mul_i32 s25, s23, s20
	s_mul_hi_u32 s1, s23, s1
	s_mul_hi_u32 s24, s23, s20
	s_add_u32 s1, s1, s25
	s_addc_u32 s24, 0, s24
	s_add_u32 s1, s1, s22
	s_mul_hi_u32 s6, s11, s20
	s_addc_u32 s1, s24, s21
	s_addc_u32 s6, s6, 0
	s_mul_i32 s20, s11, s20
	s_add_u32 s1, s1, s20
	s_addc_u32 s6, 0, s6
	s_add_u32 s1, s23, s1
	s_cselect_b64 s[20:21], -1, 0
	s_cmp_lg_u64 s[20:21], 0
	s_addc_u32 s6, s11, s6
	s_ashr_i32 s20, s15, 31
	s_add_u32 s22, s14, s20
	s_mov_b32 s21, s20
	s_addc_u32 s23, s15, s20
	s_xor_b64 s[22:23], s[22:23], s[20:21]
	s_mul_i32 s24, s22, s6
	s_mul_hi_u32 s25, s22, s1
	s_mul_hi_u32 s11, s22, s6
	s_add_u32 s24, s25, s24
	s_addc_u32 s11, 0, s11
	s_mul_hi_u32 s26, s23, s1
	s_mul_i32 s1, s23, s1
	s_add_u32 s1, s24, s1
	s_mul_hi_u32 s25, s23, s6
	s_addc_u32 s1, s11, s26
	s_addc_u32 s11, s25, 0
	s_mul_i32 s6, s23, s6
	s_add_u32 s1, s1, s6
	s_addc_u32 s6, 0, s11
	s_mul_i32 s11, s18, s6
	s_mul_hi_u32 s24, s18, s1
	s_add_i32 s11, s24, s11
	s_mul_i32 s24, s19, s1
	s_add_i32 s11, s11, s24
	s_sub_i32 s26, s23, s11
	s_mul_i32 s24, s18, s1
	s_sub_u32 s22, s22, s24
	s_cselect_b64 s[24:25], -1, 0
	s_cmp_lg_u64 s[24:25], 0
	s_subb_u32 s28, s26, s19
	s_sub_u32 s29, s22, s18
	s_cselect_b64 s[26:27], -1, 0
	s_cmp_lg_u64 s[26:27], 0
	s_subb_u32 s26, s28, 0
	s_cmp_ge_u32 s26, s19
	s_cselect_b32 s27, -1, 0
	s_cmp_ge_u32 s29, s18
	s_cselect_b32 s28, -1, 0
	s_cmp_eq_u32 s26, s19
	s_cselect_b32 s26, s28, s27
	s_add_u32 s27, s1, 1
	s_addc_u32 s28, s6, 0
	s_add_u32 s29, s1, 2
	s_addc_u32 s30, s6, 0
	s_cmp_lg_u32 s26, 0
	s_cselect_b32 s26, s29, s27
	s_cselect_b32 s27, s30, s28
	s_cmp_lg_u64 s[24:25], 0
	s_subb_u32 s11, s23, s11
	s_cmp_ge_u32 s11, s19
	s_cselect_b32 s23, -1, 0
	s_cmp_ge_u32 s22, s18
	s_cselect_b32 s18, -1, 0
	s_cmp_eq_u32 s11, s19
	s_cselect_b32 s11, s18, s23
	s_cmp_lg_u32 s11, 0
	s_cselect_b32 s19, s27, s6
	s_cselect_b32 s18, s26, s1
	s_xor_b64 s[2:3], s[20:21], s[2:3]
	s_xor_b64 s[18:19], s[18:19], s[2:3]
	s_sub_u32 s18, s18, s2
	s_load_dword s11, s[4:5], 0x44
	s_cbranch_execnz .LBB8_3
.LBB8_2:
	v_cvt_f32_u32_e32 v2, s0
	s_sub_i32 s1, 0, s0
	v_rcp_iflag_f32_e32 v2, v2
	v_mul_f32_e32 v2, 0x4f7ffffe, v2
	v_cvt_u32_f32_e32 v2, v2
	v_readfirstlane_b32 s2, v2
	s_mul_i32 s1, s1, s2
	s_mul_hi_u32 s1, s2, s1
	s_add_i32 s2, s2, s1
	s_mul_hi_u32 s1, s14, s2
	s_mul_i32 s3, s1, s0
	s_sub_i32 s3, s14, s3
	s_add_i32 s2, s1, 1
	s_sub_i32 s6, s3, s0
	s_cmp_ge_u32 s3, s0
	s_cselect_b32 s1, s2, s1
	s_cselect_b32 s3, s6, s3
	s_add_i32 s2, s1, 1
	s_cmp_ge_u32 s3, s0
	s_cselect_b32 s18, s2, s1
.LBB8_3:
	s_waitcnt lgkmcnt(0)
	s_lshr_b32 s19, s11, 16
	s_mul_i32 s7, s7, s19
	v_add_u32_e32 v5, s7, v1
	v_cmp_gt_i32_e32 vcc, s12, v5
	s_and_saveexec_b64 s[0:1], vcc
	s_cbranch_execz .LBB8_9
; %bb.4:
	s_load_dword s20, s[4:5], 0x3c
	s_load_dwordx4 s[0:3], s[4:5], 0x0
	s_load_dwordx2 s[6:7], s[4:5], 0x10
	s_mul_i32 s4, s9, s8
	s_mul_i32 s4, s4, s10
	;; [unrolled: 1-line block ×3, first 2 shown]
	s_ashr_i32 s5, s4, 31
	s_lshl_b64 s[4:5], s[4:5], 3
	s_waitcnt lgkmcnt(0)
	s_add_u32 s16, s0, s4
	s_addc_u32 s17, s1, s5
	s_ashr_i32 s1, s13, 31
	s_mul_hi_u32 s4, s14, s13
	s_mul_i32 s1, s14, s1
	s_add_i32 s1, s4, s1
	s_mul_i32 s4, s15, s13
	s_ashr_i32 s0, s12, 31
	s_add_i32 s1, s1, s4
	s_mul_i32 s4, s14, s13
	s_mul_i32 s0, s4, s0
	s_mul_hi_u32 s5, s4, s12
	s_add_i32 s0, s5, s0
	s_mul_i32 s1, s1, s12
	s_add_i32 s1, s0, s1
	s_mul_i32 s0, s4, s12
	s_lshl_b64 s[0:1], s[0:1], 3
	v_lshlrev_b32_e32 v2, 3, v0
	v_mov_b32_e32 v3, s1
	v_add_co_u32_e64 v6, s[0:1], s0, v2
	v_addc_co_u32_e64 v7, s[0:1], 0, v3, s[0:1]
	v_mul_lo_u32 v3, s13, v5
	s_mul_i32 s18, s20, s19
	s_and_b32 s19, s11, 0xffff
	v_cmp_gt_i32_e32 vcc, s13, v0
	v_mov_b32_e32 v1, 0
	s_mul_i32 s14, s18, s13
	s_lshl_b32 s15, s19, 3
	s_mov_b64 s[4:5], 0
	s_branch .LBB8_6
.LBB8_5:                                ;   in Loop: Header=BB8_6 Depth=1
	s_or_b64 exec, exec, s[8:9]
	v_add_u32_e32 v5, s18, v5
	v_cmp_le_i32_e64 s[0:1], s12, v5
	s_or_b64 s[4:5], s[0:1], s[4:5]
	v_add_u32_e32 v3, s14, v3
	s_andn2_b64 exec, exec, s[4:5]
	s_cbranch_execz .LBB8_9
.LBB8_6:                                ; =>This Loop Header: Depth=1
                                        ;     Child Loop BB8_8 Depth 2
	s_and_saveexec_b64 s[8:9], vcc
	s_cbranch_execz .LBB8_5
; %bb.7:                                ;   in Loop: Header=BB8_6 Depth=1
	v_ashrrev_i32_e32 v4, 31, v3
	v_lshlrev_b64 v[8:9], 3, v[3:4]
	s_mov_b64 s[10:11], 0
	v_add_co_u32_e64 v4, s[0:1], v6, v8
	v_addc_co_u32_e64 v8, s[0:1], v7, v9, s[0:1]
	v_mov_b32_e32 v9, v0
.LBB8_8:                                ;   Parent Loop BB8_6 Depth=1
                                        ; =>  This Inner Loop Header: Depth=2
	v_mov_b32_e32 v2, s7
	v_add_co_u32_e64 v10, s[0:1], s6, v4
	v_addc_co_u32_e64 v11, s[0:1], v2, v8, s[0:1]
	global_load_dword v2, v[10:11], off
	v_mov_b32_e32 v11, s3
	v_add_co_u32_e64 v10, s[0:1], s2, v4
	v_addc_co_u32_e64 v11, s[0:1], v11, v8, s[0:1]
	v_mov_b32_e32 v14, s17
	global_load_dwordx2 v[10:11], v[10:11], off
	v_add_u32_e32 v9, s19, v9
	s_waitcnt vmcnt(1)
	v_ashrrev_i64 v[12:13], 29, v[1:2]
	v_add_co_u32_e64 v12, s[0:1], s16, v12
	v_addc_co_u32_e64 v13, s[0:1], v14, v13, s[0:1]
	global_load_dwordx2 v[14:15], v[12:13], off
	v_add_co_u32_e64 v4, s[0:1], s15, v4
	v_addc_co_u32_e64 v8, s[0:1], 0, v8, s[0:1]
	v_cmp_le_i32_e64 s[0:1], s13, v9
	s_or_b64 s[10:11], s[0:1], s[10:11]
	s_waitcnt vmcnt(0)
	v_add_f64 v[10:11], v[10:11], v[14:15]
	global_store_dwordx2 v[12:13], v[10:11], off
	s_andn2_b64 exec, exec, s[10:11]
	s_cbranch_execnz .LBB8_8
	s_branch .LBB8_5
.LBB8_9:
	s_endpgm
.LBB8_10:
                                        ; implicit-def: $sgpr18_sgpr19
	s_load_dword s11, s[4:5], 0x44
	s_branch .LBB8_2
	.section	.rodata,"a",@progbits
	.p2align	6, 0x0
	.amdhsa_kernel _ZN2at6native12_GLOBAL__N_120adaptivemaxgradinputIdEEvPT_PKS3_PKliiiiiil
		.amdhsa_group_segment_fixed_size 0
		.amdhsa_private_segment_fixed_size 0
		.amdhsa_kernarg_size 312
		.amdhsa_user_sgpr_count 6
		.amdhsa_user_sgpr_private_segment_buffer 1
		.amdhsa_user_sgpr_dispatch_ptr 0
		.amdhsa_user_sgpr_queue_ptr 0
		.amdhsa_user_sgpr_kernarg_segment_ptr 1
		.amdhsa_user_sgpr_dispatch_id 0
		.amdhsa_user_sgpr_flat_scratch_init 0
		.amdhsa_user_sgpr_private_segment_size 0
		.amdhsa_uses_dynamic_stack 0
		.amdhsa_system_sgpr_private_segment_wavefront_offset 0
		.amdhsa_system_sgpr_workgroup_id_x 1
		.amdhsa_system_sgpr_workgroup_id_y 1
		.amdhsa_system_sgpr_workgroup_id_z 0
		.amdhsa_system_sgpr_workgroup_info 0
		.amdhsa_system_vgpr_workitem_id 1
		.amdhsa_next_free_vgpr 16
		.amdhsa_next_free_sgpr 31
		.amdhsa_reserve_vcc 1
		.amdhsa_reserve_flat_scratch 0
		.amdhsa_float_round_mode_32 0
		.amdhsa_float_round_mode_16_64 0
		.amdhsa_float_denorm_mode_32 3
		.amdhsa_float_denorm_mode_16_64 3
		.amdhsa_dx10_clamp 1
		.amdhsa_ieee_mode 1
		.amdhsa_fp16_overflow 0
		.amdhsa_exception_fp_ieee_invalid_op 0
		.amdhsa_exception_fp_denorm_src 0
		.amdhsa_exception_fp_ieee_div_zero 0
		.amdhsa_exception_fp_ieee_overflow 0
		.amdhsa_exception_fp_ieee_underflow 0
		.amdhsa_exception_fp_ieee_inexact 0
		.amdhsa_exception_int_div_zero 0
	.end_amdhsa_kernel
	.section	.text._ZN2at6native12_GLOBAL__N_120adaptivemaxgradinputIdEEvPT_PKS3_PKliiiiiil,"axG",@progbits,_ZN2at6native12_GLOBAL__N_120adaptivemaxgradinputIdEEvPT_PKS3_PKliiiiiil,comdat
.Lfunc_end8:
	.size	_ZN2at6native12_GLOBAL__N_120adaptivemaxgradinputIdEEvPT_PKS3_PKliiiiiil, .Lfunc_end8-_ZN2at6native12_GLOBAL__N_120adaptivemaxgradinputIdEEvPT_PKS3_PKliiiiiil
                                        ; -- End function
	.set _ZN2at6native12_GLOBAL__N_120adaptivemaxgradinputIdEEvPT_PKS3_PKliiiiiil.num_vgpr, 16
	.set _ZN2at6native12_GLOBAL__N_120adaptivemaxgradinputIdEEvPT_PKS3_PKliiiiiil.num_agpr, 0
	.set _ZN2at6native12_GLOBAL__N_120adaptivemaxgradinputIdEEvPT_PKS3_PKliiiiiil.numbered_sgpr, 31
	.set _ZN2at6native12_GLOBAL__N_120adaptivemaxgradinputIdEEvPT_PKS3_PKliiiiiil.num_named_barrier, 0
	.set _ZN2at6native12_GLOBAL__N_120adaptivemaxgradinputIdEEvPT_PKS3_PKliiiiiil.private_seg_size, 0
	.set _ZN2at6native12_GLOBAL__N_120adaptivemaxgradinputIdEEvPT_PKS3_PKliiiiiil.uses_vcc, 1
	.set _ZN2at6native12_GLOBAL__N_120adaptivemaxgradinputIdEEvPT_PKS3_PKliiiiiil.uses_flat_scratch, 0
	.set _ZN2at6native12_GLOBAL__N_120adaptivemaxgradinputIdEEvPT_PKS3_PKliiiiiil.has_dyn_sized_stack, 0
	.set _ZN2at6native12_GLOBAL__N_120adaptivemaxgradinputIdEEvPT_PKS3_PKliiiiiil.has_recursion, 0
	.set _ZN2at6native12_GLOBAL__N_120adaptivemaxgradinputIdEEvPT_PKS3_PKliiiiiil.has_indirect_call, 0
	.section	.AMDGPU.csdata,"",@progbits
; Kernel info:
; codeLenInByte = 1144
; TotalNumSgprs: 35
; NumVgprs: 16
; ScratchSize: 0
; MemoryBound: 0
; FloatMode: 240
; IeeeMode: 1
; LDSByteSize: 0 bytes/workgroup (compile time only)
; SGPRBlocks: 4
; VGPRBlocks: 3
; NumSGPRsForWavesPerEU: 35
; NumVGPRsForWavesPerEU: 16
; Occupancy: 10
; WaveLimiterHint : 1
; COMPUTE_PGM_RSRC2:SCRATCH_EN: 0
; COMPUTE_PGM_RSRC2:USER_SGPR: 6
; COMPUTE_PGM_RSRC2:TRAP_HANDLER: 0
; COMPUTE_PGM_RSRC2:TGID_X_EN: 1
; COMPUTE_PGM_RSRC2:TGID_Y_EN: 1
; COMPUTE_PGM_RSRC2:TGID_Z_EN: 0
; COMPUTE_PGM_RSRC2:TIDIG_COMP_CNT: 1
	.section	.text._ZN2at6native12_GLOBAL__N_120adaptivemaxgradinputIfEEvPT_PKS3_PKliiiiiil,"axG",@progbits,_ZN2at6native12_GLOBAL__N_120adaptivemaxgradinputIfEEvPT_PKS3_PKliiiiiil,comdat
	.globl	_ZN2at6native12_GLOBAL__N_120adaptivemaxgradinputIfEEvPT_PKS3_PKliiiiiil ; -- Begin function _ZN2at6native12_GLOBAL__N_120adaptivemaxgradinputIfEEvPT_PKS3_PKliiiiiil
	.p2align	8
	.type	_ZN2at6native12_GLOBAL__N_120adaptivemaxgradinputIfEEvPT_PKS3_PKliiiiiil,@function
_ZN2at6native12_GLOBAL__N_120adaptivemaxgradinputIfEEvPT_PKS3_PKliiiiiil: ; @_ZN2at6native12_GLOBAL__N_120adaptivemaxgradinputIfEEvPT_PKS3_PKliiiiiil
; %bb.0:
	s_load_dwordx8 s[8:15], s[4:5], 0x18
	s_mov_b32 s16, 0
	s_waitcnt lgkmcnt(0)
	s_add_u32 s0, s14, s6
	s_addc_u32 s1, s15, 0
	s_ashr_i32 s3, s11, 31
	s_mov_b32 s2, s11
	s_or_b64 s[14:15], s[0:1], s[2:3]
	s_mov_b32 s17, s15
	s_cmp_lg_u64 s[16:17], 0
	s_cbranch_scc0 .LBB9_10
; %bb.1:
	s_ashr_i32 s14, s3, 31
	s_add_u32 s16, s2, s14
	s_mov_b32 s15, s14
	s_addc_u32 s17, s3, s14
	s_xor_b64 s[18:19], s[16:17], s[14:15]
	v_cvt_f32_u32_e32 v2, s18
	v_cvt_f32_u32_e32 v3, s19
	s_sub_u32 s3, 0, s18
	s_subb_u32 s6, 0, s19
	v_madmk_f32 v2, v3, 0x4f800000, v2
	v_rcp_f32_e32 v2, v2
	v_mul_f32_e32 v2, 0x5f7ffffc, v2
	v_mul_f32_e32 v3, 0x2f800000, v2
	v_trunc_f32_e32 v3, v3
	v_madmk_f32 v2, v3, 0xcf800000, v2
	v_cvt_u32_f32_e32 v3, v3
	v_cvt_u32_f32_e32 v2, v2
	v_readfirstlane_b32 s11, v3
	v_readfirstlane_b32 s20, v2
	s_mul_i32 s21, s3, s11
	s_mul_hi_u32 s23, s3, s20
	s_mul_i32 s22, s6, s20
	s_add_i32 s21, s23, s21
	s_add_i32 s21, s21, s22
	s_mul_i32 s24, s3, s20
	s_mul_i32 s23, s20, s21
	s_mul_hi_u32 s25, s20, s24
	s_mul_hi_u32 s22, s20, s21
	s_add_u32 s23, s25, s23
	s_addc_u32 s22, 0, s22
	s_mul_hi_u32 s26, s11, s24
	s_mul_i32 s24, s11, s24
	s_add_u32 s23, s23, s24
	s_mul_hi_u32 s25, s11, s21
	s_addc_u32 s22, s22, s26
	s_addc_u32 s23, s25, 0
	s_mul_i32 s21, s11, s21
	s_add_u32 s21, s22, s21
	s_addc_u32 s22, 0, s23
	s_add_u32 s23, s20, s21
	s_cselect_b64 s[20:21], -1, 0
	s_cmp_lg_u64 s[20:21], 0
	s_addc_u32 s11, s11, s22
	s_mul_i32 s20, s3, s11
	s_mul_hi_u32 s21, s3, s23
	s_add_i32 s20, s21, s20
	s_mul_i32 s6, s6, s23
	s_add_i32 s20, s20, s6
	s_mul_i32 s3, s3, s23
	s_mul_hi_u32 s21, s11, s3
	s_mul_i32 s22, s11, s3
	s_mul_i32 s25, s23, s20
	s_mul_hi_u32 s3, s23, s3
	s_mul_hi_u32 s24, s23, s20
	s_add_u32 s3, s3, s25
	s_addc_u32 s24, 0, s24
	s_add_u32 s3, s3, s22
	s_mul_hi_u32 s6, s11, s20
	s_addc_u32 s3, s24, s21
	s_addc_u32 s6, s6, 0
	s_mul_i32 s20, s11, s20
	s_add_u32 s3, s3, s20
	s_addc_u32 s6, 0, s6
	s_add_u32 s3, s23, s3
	s_cselect_b64 s[20:21], -1, 0
	s_cmp_lg_u64 s[20:21], 0
	s_addc_u32 s6, s11, s6
	s_ashr_i32 s20, s1, 31
	s_add_u32 s22, s0, s20
	s_mov_b32 s21, s20
	s_addc_u32 s23, s1, s20
	s_xor_b64 s[22:23], s[22:23], s[20:21]
	s_mul_i32 s24, s22, s6
	s_mul_hi_u32 s25, s22, s3
	s_mul_hi_u32 s11, s22, s6
	s_add_u32 s24, s25, s24
	s_addc_u32 s11, 0, s11
	s_mul_hi_u32 s26, s23, s3
	s_mul_i32 s3, s23, s3
	s_add_u32 s3, s24, s3
	s_mul_hi_u32 s25, s23, s6
	s_addc_u32 s3, s11, s26
	s_addc_u32 s11, s25, 0
	s_mul_i32 s6, s23, s6
	s_add_u32 s3, s3, s6
	s_addc_u32 s6, 0, s11
	s_mul_i32 s11, s18, s6
	s_mul_hi_u32 s24, s18, s3
	s_add_i32 s11, s24, s11
	s_mul_i32 s24, s19, s3
	s_add_i32 s11, s11, s24
	s_sub_i32 s26, s23, s11
	s_mul_i32 s24, s18, s3
	s_sub_u32 s22, s22, s24
	s_cselect_b64 s[24:25], -1, 0
	s_cmp_lg_u64 s[24:25], 0
	s_subb_u32 s28, s26, s19
	s_sub_u32 s29, s22, s18
	s_cselect_b64 s[26:27], -1, 0
	s_cmp_lg_u64 s[26:27], 0
	s_subb_u32 s26, s28, 0
	s_cmp_ge_u32 s26, s19
	s_cselect_b32 s27, -1, 0
	s_cmp_ge_u32 s29, s18
	s_cselect_b32 s28, -1, 0
	s_cmp_eq_u32 s26, s19
	s_cselect_b32 s26, s28, s27
	s_add_u32 s27, s3, 1
	s_addc_u32 s28, s6, 0
	s_add_u32 s29, s3, 2
	s_addc_u32 s30, s6, 0
	s_cmp_lg_u32 s26, 0
	s_cselect_b32 s26, s29, s27
	s_cselect_b32 s27, s30, s28
	s_cmp_lg_u64 s[24:25], 0
	s_subb_u32 s11, s23, s11
	s_cmp_ge_u32 s11, s19
	s_cselect_b32 s23, -1, 0
	s_cmp_ge_u32 s22, s18
	s_cselect_b32 s18, -1, 0
	s_cmp_eq_u32 s11, s19
	s_cselect_b32 s11, s18, s23
	s_cmp_lg_u32 s11, 0
	s_cselect_b32 s19, s27, s6
	s_cselect_b32 s18, s26, s3
	s_xor_b64 s[14:15], s[20:21], s[14:15]
	s_xor_b64 s[18:19], s[18:19], s[14:15]
	s_sub_u32 s14, s18, s14
	s_load_dword s3, s[4:5], 0x44
	s_cbranch_execnz .LBB9_3
.LBB9_2:
	v_cvt_f32_u32_e32 v2, s2
	s_sub_i32 s6, 0, s2
	v_rcp_iflag_f32_e32 v2, v2
	v_mul_f32_e32 v2, 0x4f7ffffe, v2
	v_cvt_u32_f32_e32 v2, v2
	v_readfirstlane_b32 s11, v2
	s_mul_i32 s6, s6, s11
	s_mul_hi_u32 s6, s11, s6
	s_add_i32 s11, s11, s6
	s_mul_hi_u32 s6, s0, s11
	s_mul_i32 s14, s6, s2
	s_sub_i32 s14, s0, s14
	s_add_i32 s11, s6, 1
	s_sub_i32 s15, s14, s2
	s_cmp_ge_u32 s14, s2
	s_cselect_b32 s6, s11, s6
	s_cselect_b32 s14, s15, s14
	s_add_i32 s11, s6, 1
	s_cmp_ge_u32 s14, s2
	s_cselect_b32 s14, s11, s6
.LBB9_3:
	s_waitcnt lgkmcnt(0)
	s_lshr_b32 s2, s3, 16
	s_mul_i32 s7, s7, s2
	v_add_u32_e32 v9, s7, v1
	v_cmp_gt_i32_e32 vcc, s12, v9
	s_and_saveexec_b64 s[6:7], vcc
	s_cbranch_execz .LBB9_9
; %bb.4:
	s_load_dword s11, s[4:5], 0x3c
	s_load_dwordx4 s[16:19], s[4:5], 0x0
	s_load_dwordx2 s[6:7], s[4:5], 0x10
	s_mul_i32 s4, s9, s8
	s_mul_i32 s4, s4, s10
	;; [unrolled: 1-line block ×3, first 2 shown]
	s_ashr_i32 s5, s4, 31
	s_lshl_b64 s[4:5], s[4:5], 2
	s_waitcnt lgkmcnt(0)
	s_add_u32 s8, s16, s4
	s_addc_u32 s9, s17, s5
	s_ashr_i32 s5, s13, 31
	s_mul_i32 s10, s11, s2
	s_and_b32 s11, s3, 0xffff
	s_mul_hi_u32 s2, s0, s13
	s_mul_i32 s3, s0, s5
	s_ashr_i32 s4, s12, 31
	s_add_i32 s2, s2, s3
	s_mul_i32 s1, s1, s13
	s_mul_i32 s0, s0, s13
	s_add_i32 s1, s2, s1
	s_mul_i32 s2, s0, s4
	s_mul_hi_u32 s3, s0, s12
	s_add_i32 s2, s3, s2
	s_mul_i32 s1, s1, s12
	s_add_i32 s3, s2, s1
	s_mul_i32 s2, s0, s12
	s_lshl_b64 s[0:1], s[2:3], 2
	s_add_u32 s0, s18, s0
	v_lshlrev_b32_e32 v2, 2, v0
	s_addc_u32 s1, s19, s1
	v_mov_b32_e32 v3, s1
	v_add_co_u32_e64 v10, s[0:1], s0, v2
	v_addc_co_u32_e64 v11, s[0:1], 0, v3, s[0:1]
	s_lshl_b32 s15, s11, 2
	s_lshl_b64 s[0:1], s[2:3], 3
	v_mul_lo_u32 v3, s13, v9
	s_add_u32 s0, s6, s0
	v_lshlrev_b32_e32 v2, 3, v0
	s_addc_u32 s1, s7, s1
	v_mov_b32_e32 v4, s1
	v_add_co_u32_e64 v12, s[0:1], s0, v2
	v_cmp_gt_i32_e32 vcc, s13, v0
	v_mov_b32_e32 v1, 0
	s_mul_i32 s14, s10, s13
	v_addc_co_u32_e64 v13, s[0:1], 0, v4, s[0:1]
	s_lshl_b32 s16, s11, 3
	s_mov_b64 s[2:3], 0
	s_branch .LBB9_6
.LBB9_5:                                ;   in Loop: Header=BB9_6 Depth=1
	s_or_b64 exec, exec, s[4:5]
	v_add_u32_e32 v9, s10, v9
	v_cmp_le_i32_e64 s[0:1], s12, v9
	s_or_b64 s[2:3], s[0:1], s[2:3]
	v_add_u32_e32 v3, s14, v3
	s_andn2_b64 exec, exec, s[2:3]
	s_cbranch_execz .LBB9_9
.LBB9_6:                                ; =>This Loop Header: Depth=1
                                        ;     Child Loop BB9_8 Depth 2
	s_and_saveexec_b64 s[4:5], vcc
	s_cbranch_execz .LBB9_5
; %bb.7:                                ;   in Loop: Header=BB9_6 Depth=1
	v_ashrrev_i32_e32 v4, 31, v3
	v_lshlrev_b64 v[5:6], 2, v[3:4]
	v_lshlrev_b64 v[7:8], 3, v[3:4]
	v_add_co_u32_e64 v5, s[0:1], v10, v5
	v_addc_co_u32_e64 v6, s[0:1], v11, v6, s[0:1]
	v_add_co_u32_e64 v7, s[0:1], v12, v7
	v_addc_co_u32_e64 v8, s[0:1], v13, v8, s[0:1]
	s_mov_b64 s[6:7], 0
	v_mov_b32_e32 v4, v0
.LBB9_8:                                ;   Parent Loop BB9_6 Depth=1
                                        ; =>  This Inner Loop Header: Depth=2
	global_load_dword v2, v[7:8], off
	global_load_dword v16, v[5:6], off
	v_mov_b32_e32 v17, s9
	v_add_u32_e32 v4, s11, v4
	s_waitcnt vmcnt(1)
	v_ashrrev_i64 v[14:15], 30, v[1:2]
	v_add_co_u32_e64 v14, s[0:1], s8, v14
	v_addc_co_u32_e64 v15, s[0:1], v17, v15, s[0:1]
	global_load_dword v2, v[14:15], off
	v_add_co_u32_e64 v5, s[0:1], s15, v5
	v_addc_co_u32_e64 v6, s[0:1], 0, v6, s[0:1]
	v_add_co_u32_e64 v7, s[0:1], s16, v7
	v_addc_co_u32_e64 v8, s[0:1], 0, v8, s[0:1]
	v_cmp_le_i32_e64 s[0:1], s13, v4
	s_or_b64 s[6:7], s[0:1], s[6:7]
	s_waitcnt vmcnt(0)
	v_add_f32_e32 v2, v16, v2
	global_store_dword v[14:15], v2, off
	s_andn2_b64 exec, exec, s[6:7]
	s_cbranch_execnz .LBB9_8
	s_branch .LBB9_5
.LBB9_9:
	s_endpgm
.LBB9_10:
                                        ; implicit-def: $sgpr14_sgpr15
	s_load_dword s3, s[4:5], 0x44
	s_branch .LBB9_2
	.section	.rodata,"a",@progbits
	.p2align	6, 0x0
	.amdhsa_kernel _ZN2at6native12_GLOBAL__N_120adaptivemaxgradinputIfEEvPT_PKS3_PKliiiiiil
		.amdhsa_group_segment_fixed_size 0
		.amdhsa_private_segment_fixed_size 0
		.amdhsa_kernarg_size 312
		.amdhsa_user_sgpr_count 6
		.amdhsa_user_sgpr_private_segment_buffer 1
		.amdhsa_user_sgpr_dispatch_ptr 0
		.amdhsa_user_sgpr_queue_ptr 0
		.amdhsa_user_sgpr_kernarg_segment_ptr 1
		.amdhsa_user_sgpr_dispatch_id 0
		.amdhsa_user_sgpr_flat_scratch_init 0
		.amdhsa_user_sgpr_private_segment_size 0
		.amdhsa_uses_dynamic_stack 0
		.amdhsa_system_sgpr_private_segment_wavefront_offset 0
		.amdhsa_system_sgpr_workgroup_id_x 1
		.amdhsa_system_sgpr_workgroup_id_y 1
		.amdhsa_system_sgpr_workgroup_id_z 0
		.amdhsa_system_sgpr_workgroup_info 0
		.amdhsa_system_vgpr_workitem_id 1
		.amdhsa_next_free_vgpr 18
		.amdhsa_next_free_sgpr 31
		.amdhsa_reserve_vcc 1
		.amdhsa_reserve_flat_scratch 0
		.amdhsa_float_round_mode_32 0
		.amdhsa_float_round_mode_16_64 0
		.amdhsa_float_denorm_mode_32 3
		.amdhsa_float_denorm_mode_16_64 3
		.amdhsa_dx10_clamp 1
		.amdhsa_ieee_mode 1
		.amdhsa_fp16_overflow 0
		.amdhsa_exception_fp_ieee_invalid_op 0
		.amdhsa_exception_fp_denorm_src 0
		.amdhsa_exception_fp_ieee_div_zero 0
		.amdhsa_exception_fp_ieee_overflow 0
		.amdhsa_exception_fp_ieee_underflow 0
		.amdhsa_exception_fp_ieee_inexact 0
		.amdhsa_exception_int_div_zero 0
	.end_amdhsa_kernel
	.section	.text._ZN2at6native12_GLOBAL__N_120adaptivemaxgradinputIfEEvPT_PKS3_PKliiiiiil,"axG",@progbits,_ZN2at6native12_GLOBAL__N_120adaptivemaxgradinputIfEEvPT_PKS3_PKliiiiiil,comdat
.Lfunc_end9:
	.size	_ZN2at6native12_GLOBAL__N_120adaptivemaxgradinputIfEEvPT_PKS3_PKliiiiiil, .Lfunc_end9-_ZN2at6native12_GLOBAL__N_120adaptivemaxgradinputIfEEvPT_PKS3_PKliiiiiil
                                        ; -- End function
	.set _ZN2at6native12_GLOBAL__N_120adaptivemaxgradinputIfEEvPT_PKS3_PKliiiiiil.num_vgpr, 18
	.set _ZN2at6native12_GLOBAL__N_120adaptivemaxgradinputIfEEvPT_PKS3_PKliiiiiil.num_agpr, 0
	.set _ZN2at6native12_GLOBAL__N_120adaptivemaxgradinputIfEEvPT_PKS3_PKliiiiiil.numbered_sgpr, 31
	.set _ZN2at6native12_GLOBAL__N_120adaptivemaxgradinputIfEEvPT_PKS3_PKliiiiiil.num_named_barrier, 0
	.set _ZN2at6native12_GLOBAL__N_120adaptivemaxgradinputIfEEvPT_PKS3_PKliiiiiil.private_seg_size, 0
	.set _ZN2at6native12_GLOBAL__N_120adaptivemaxgradinputIfEEvPT_PKS3_PKliiiiiil.uses_vcc, 1
	.set _ZN2at6native12_GLOBAL__N_120adaptivemaxgradinputIfEEvPT_PKS3_PKliiiiiil.uses_flat_scratch, 0
	.set _ZN2at6native12_GLOBAL__N_120adaptivemaxgradinputIfEEvPT_PKS3_PKliiiiiil.has_dyn_sized_stack, 0
	.set _ZN2at6native12_GLOBAL__N_120adaptivemaxgradinputIfEEvPT_PKS3_PKliiiiiil.has_recursion, 0
	.set _ZN2at6native12_GLOBAL__N_120adaptivemaxgradinputIfEEvPT_PKS3_PKliiiiiil.has_indirect_call, 0
	.section	.AMDGPU.csdata,"",@progbits
; Kernel info:
; codeLenInByte = 1188
; TotalNumSgprs: 35
; NumVgprs: 18
; ScratchSize: 0
; MemoryBound: 0
; FloatMode: 240
; IeeeMode: 1
; LDSByteSize: 0 bytes/workgroup (compile time only)
; SGPRBlocks: 4
; VGPRBlocks: 4
; NumSGPRsForWavesPerEU: 35
; NumVGPRsForWavesPerEU: 18
; Occupancy: 10
; WaveLimiterHint : 1
; COMPUTE_PGM_RSRC2:SCRATCH_EN: 0
; COMPUTE_PGM_RSRC2:USER_SGPR: 6
; COMPUTE_PGM_RSRC2:TRAP_HANDLER: 0
; COMPUTE_PGM_RSRC2:TGID_X_EN: 1
; COMPUTE_PGM_RSRC2:TGID_Y_EN: 1
; COMPUTE_PGM_RSRC2:TGID_Z_EN: 0
; COMPUTE_PGM_RSRC2:TIDIG_COMP_CNT: 1
	.section	.text._ZN2at6native12_GLOBAL__N_120adaptivemaxgradinputIN3c104HalfEEEvPT_PKS5_PKliiiiiil,"axG",@progbits,_ZN2at6native12_GLOBAL__N_120adaptivemaxgradinputIN3c104HalfEEEvPT_PKS5_PKliiiiiil,comdat
	.globl	_ZN2at6native12_GLOBAL__N_120adaptivemaxgradinputIN3c104HalfEEEvPT_PKS5_PKliiiiiil ; -- Begin function _ZN2at6native12_GLOBAL__N_120adaptivemaxgradinputIN3c104HalfEEEvPT_PKS5_PKliiiiiil
	.p2align	8
	.type	_ZN2at6native12_GLOBAL__N_120adaptivemaxgradinputIN3c104HalfEEEvPT_PKS5_PKliiiiiil,@function
_ZN2at6native12_GLOBAL__N_120adaptivemaxgradinputIN3c104HalfEEEvPT_PKS5_PKliiiiiil: ; @_ZN2at6native12_GLOBAL__N_120adaptivemaxgradinputIN3c104HalfEEEvPT_PKS5_PKliiiiiil
; %bb.0:
	s_load_dwordx8 s[8:15], s[4:5], 0x18
	s_mov_b32 s16, 0
	s_waitcnt lgkmcnt(0)
	s_add_u32 s0, s14, s6
	s_addc_u32 s1, s15, 0
	s_ashr_i32 s3, s11, 31
	s_mov_b32 s2, s11
	s_or_b64 s[14:15], s[0:1], s[2:3]
	s_mov_b32 s17, s15
	s_cmp_lg_u64 s[16:17], 0
	s_cbranch_scc0 .LBB10_10
; %bb.1:
	s_ashr_i32 s14, s3, 31
	s_add_u32 s16, s2, s14
	s_mov_b32 s15, s14
	s_addc_u32 s17, s3, s14
	s_xor_b64 s[18:19], s[16:17], s[14:15]
	v_cvt_f32_u32_e32 v2, s18
	v_cvt_f32_u32_e32 v3, s19
	s_sub_u32 s3, 0, s18
	s_subb_u32 s6, 0, s19
	v_madmk_f32 v2, v3, 0x4f800000, v2
	v_rcp_f32_e32 v2, v2
	v_mul_f32_e32 v2, 0x5f7ffffc, v2
	v_mul_f32_e32 v3, 0x2f800000, v2
	v_trunc_f32_e32 v3, v3
	v_madmk_f32 v2, v3, 0xcf800000, v2
	v_cvt_u32_f32_e32 v3, v3
	v_cvt_u32_f32_e32 v2, v2
	v_readfirstlane_b32 s11, v3
	v_readfirstlane_b32 s20, v2
	s_mul_i32 s21, s3, s11
	s_mul_hi_u32 s23, s3, s20
	s_mul_i32 s22, s6, s20
	s_add_i32 s21, s23, s21
	s_add_i32 s21, s21, s22
	s_mul_i32 s24, s3, s20
	s_mul_i32 s23, s20, s21
	s_mul_hi_u32 s25, s20, s24
	s_mul_hi_u32 s22, s20, s21
	s_add_u32 s23, s25, s23
	s_addc_u32 s22, 0, s22
	s_mul_hi_u32 s26, s11, s24
	s_mul_i32 s24, s11, s24
	s_add_u32 s23, s23, s24
	s_mul_hi_u32 s25, s11, s21
	s_addc_u32 s22, s22, s26
	s_addc_u32 s23, s25, 0
	s_mul_i32 s21, s11, s21
	s_add_u32 s21, s22, s21
	s_addc_u32 s22, 0, s23
	s_add_u32 s23, s20, s21
	s_cselect_b64 s[20:21], -1, 0
	s_cmp_lg_u64 s[20:21], 0
	s_addc_u32 s11, s11, s22
	s_mul_i32 s20, s3, s11
	s_mul_hi_u32 s21, s3, s23
	s_add_i32 s20, s21, s20
	s_mul_i32 s6, s6, s23
	s_add_i32 s20, s20, s6
	s_mul_i32 s3, s3, s23
	s_mul_hi_u32 s21, s11, s3
	s_mul_i32 s22, s11, s3
	s_mul_i32 s25, s23, s20
	s_mul_hi_u32 s3, s23, s3
	s_mul_hi_u32 s24, s23, s20
	s_add_u32 s3, s3, s25
	s_addc_u32 s24, 0, s24
	s_add_u32 s3, s3, s22
	s_mul_hi_u32 s6, s11, s20
	s_addc_u32 s3, s24, s21
	s_addc_u32 s6, s6, 0
	s_mul_i32 s20, s11, s20
	s_add_u32 s3, s3, s20
	s_addc_u32 s6, 0, s6
	s_add_u32 s3, s23, s3
	s_cselect_b64 s[20:21], -1, 0
	s_cmp_lg_u64 s[20:21], 0
	s_addc_u32 s6, s11, s6
	s_ashr_i32 s20, s1, 31
	s_add_u32 s22, s0, s20
	s_mov_b32 s21, s20
	s_addc_u32 s23, s1, s20
	s_xor_b64 s[22:23], s[22:23], s[20:21]
	s_mul_i32 s24, s22, s6
	s_mul_hi_u32 s25, s22, s3
	s_mul_hi_u32 s11, s22, s6
	s_add_u32 s24, s25, s24
	s_addc_u32 s11, 0, s11
	s_mul_hi_u32 s26, s23, s3
	s_mul_i32 s3, s23, s3
	s_add_u32 s3, s24, s3
	s_mul_hi_u32 s25, s23, s6
	s_addc_u32 s3, s11, s26
	s_addc_u32 s11, s25, 0
	s_mul_i32 s6, s23, s6
	s_add_u32 s3, s3, s6
	s_addc_u32 s6, 0, s11
	s_mul_i32 s11, s18, s6
	s_mul_hi_u32 s24, s18, s3
	s_add_i32 s11, s24, s11
	s_mul_i32 s24, s19, s3
	s_add_i32 s11, s11, s24
	s_sub_i32 s26, s23, s11
	s_mul_i32 s24, s18, s3
	s_sub_u32 s22, s22, s24
	s_cselect_b64 s[24:25], -1, 0
	s_cmp_lg_u64 s[24:25], 0
	s_subb_u32 s28, s26, s19
	s_sub_u32 s29, s22, s18
	s_cselect_b64 s[26:27], -1, 0
	s_cmp_lg_u64 s[26:27], 0
	s_subb_u32 s26, s28, 0
	s_cmp_ge_u32 s26, s19
	s_cselect_b32 s27, -1, 0
	s_cmp_ge_u32 s29, s18
	s_cselect_b32 s28, -1, 0
	s_cmp_eq_u32 s26, s19
	s_cselect_b32 s26, s28, s27
	s_add_u32 s27, s3, 1
	s_addc_u32 s28, s6, 0
	s_add_u32 s29, s3, 2
	s_addc_u32 s30, s6, 0
	s_cmp_lg_u32 s26, 0
	s_cselect_b32 s26, s29, s27
	s_cselect_b32 s27, s30, s28
	s_cmp_lg_u64 s[24:25], 0
	s_subb_u32 s11, s23, s11
	s_cmp_ge_u32 s11, s19
	s_cselect_b32 s23, -1, 0
	s_cmp_ge_u32 s22, s18
	s_cselect_b32 s18, -1, 0
	s_cmp_eq_u32 s11, s19
	s_cselect_b32 s11, s18, s23
	s_cmp_lg_u32 s11, 0
	s_cselect_b32 s19, s27, s6
	s_cselect_b32 s18, s26, s3
	s_xor_b64 s[14:15], s[20:21], s[14:15]
	s_xor_b64 s[18:19], s[18:19], s[14:15]
	s_sub_u32 s14, s18, s14
	s_load_dword s3, s[4:5], 0x44
	s_cbranch_execnz .LBB10_3
.LBB10_2:
	v_cvt_f32_u32_e32 v2, s2
	s_sub_i32 s6, 0, s2
	v_rcp_iflag_f32_e32 v2, v2
	v_mul_f32_e32 v2, 0x4f7ffffe, v2
	v_cvt_u32_f32_e32 v2, v2
	v_readfirstlane_b32 s11, v2
	s_mul_i32 s6, s6, s11
	s_mul_hi_u32 s6, s11, s6
	s_add_i32 s11, s11, s6
	s_mul_hi_u32 s6, s0, s11
	s_mul_i32 s14, s6, s2
	s_sub_i32 s14, s0, s14
	s_add_i32 s11, s6, 1
	s_sub_i32 s15, s14, s2
	s_cmp_ge_u32 s14, s2
	s_cselect_b32 s6, s11, s6
	s_cselect_b32 s14, s15, s14
	s_add_i32 s11, s6, 1
	s_cmp_ge_u32 s14, s2
	s_cselect_b32 s14, s11, s6
.LBB10_3:
	s_waitcnt lgkmcnt(0)
	s_lshr_b32 s2, s3, 16
	s_mul_i32 s7, s7, s2
	v_add_u32_e32 v9, s7, v1
	v_cmp_gt_i32_e32 vcc, s12, v9
	s_and_saveexec_b64 s[6:7], vcc
	s_cbranch_execz .LBB10_9
; %bb.4:
	s_load_dword s11, s[4:5], 0x3c
	s_load_dwordx4 s[16:19], s[4:5], 0x0
	s_load_dwordx2 s[6:7], s[4:5], 0x10
	s_mul_i32 s4, s9, s8
	s_mul_i32 s4, s4, s10
	;; [unrolled: 1-line block ×3, first 2 shown]
	s_ashr_i32 s5, s4, 31
	s_lshl_b64 s[4:5], s[4:5], 1
	s_waitcnt lgkmcnt(0)
	s_add_u32 s8, s16, s4
	s_addc_u32 s9, s17, s5
	s_ashr_i32 s5, s13, 31
	s_mul_i32 s10, s11, s2
	s_and_b32 s11, s3, 0xffff
	s_mul_hi_u32 s2, s0, s13
	s_mul_i32 s3, s0, s5
	s_ashr_i32 s4, s12, 31
	s_add_i32 s2, s2, s3
	s_mul_i32 s1, s1, s13
	s_mul_i32 s0, s0, s13
	s_add_i32 s1, s2, s1
	s_mul_i32 s2, s0, s4
	s_mul_hi_u32 s3, s0, s12
	s_add_i32 s2, s3, s2
	s_mul_i32 s1, s1, s12
	s_add_i32 s3, s2, s1
	s_mul_i32 s2, s0, s12
	s_lshl_b64 s[0:1], s[2:3], 1
	s_add_u32 s0, s18, s0
	v_lshlrev_b32_e32 v2, 1, v0
	s_addc_u32 s1, s19, s1
	v_mov_b32_e32 v3, s1
	v_add_co_u32_e64 v10, s[0:1], s0, v2
	v_addc_co_u32_e64 v11, s[0:1], 0, v3, s[0:1]
	s_lshl_b32 s15, s11, 1
	s_lshl_b64 s[0:1], s[2:3], 3
	v_mul_lo_u32 v3, s13, v9
	s_add_u32 s0, s6, s0
	v_lshlrev_b32_e32 v2, 3, v0
	s_addc_u32 s1, s7, s1
	v_mov_b32_e32 v4, s1
	v_add_co_u32_e64 v12, s[0:1], s0, v2
	v_cmp_gt_i32_e32 vcc, s13, v0
	v_mov_b32_e32 v1, 0
	s_mul_i32 s14, s10, s13
	v_addc_co_u32_e64 v13, s[0:1], 0, v4, s[0:1]
	s_lshl_b32 s16, s11, 3
	s_mov_b64 s[2:3], 0
	s_branch .LBB10_6
.LBB10_5:                               ;   in Loop: Header=BB10_6 Depth=1
	s_or_b64 exec, exec, s[4:5]
	v_add_u32_e32 v9, s10, v9
	v_cmp_le_i32_e64 s[0:1], s12, v9
	s_or_b64 s[2:3], s[0:1], s[2:3]
	v_add_u32_e32 v3, s14, v3
	s_andn2_b64 exec, exec, s[2:3]
	s_cbranch_execz .LBB10_9
.LBB10_6:                               ; =>This Loop Header: Depth=1
                                        ;     Child Loop BB10_8 Depth 2
	s_and_saveexec_b64 s[4:5], vcc
	s_cbranch_execz .LBB10_5
; %bb.7:                                ;   in Loop: Header=BB10_6 Depth=1
	v_ashrrev_i32_e32 v4, 31, v3
	v_lshlrev_b64 v[5:6], 1, v[3:4]
	v_lshlrev_b64 v[7:8], 3, v[3:4]
	v_add_co_u32_e64 v5, s[0:1], v10, v5
	v_addc_co_u32_e64 v6, s[0:1], v11, v6, s[0:1]
	v_add_co_u32_e64 v7, s[0:1], v12, v7
	v_addc_co_u32_e64 v8, s[0:1], v13, v8, s[0:1]
	s_mov_b64 s[6:7], 0
	v_mov_b32_e32 v4, v0
.LBB10_8:                               ;   Parent Loop BB10_6 Depth=1
                                        ; =>  This Inner Loop Header: Depth=2
	global_load_dword v2, v[7:8], off
	global_load_ushort v16, v[5:6], off
	v_mov_b32_e32 v17, s9
	v_add_u32_e32 v4, s11, v4
	s_waitcnt vmcnt(1)
	v_ashrrev_i64 v[14:15], 31, v[1:2]
	v_add_co_u32_e64 v14, s[0:1], s8, v14
	v_addc_co_u32_e64 v15, s[0:1], v17, v15, s[0:1]
	global_load_ushort v2, v[14:15], off
	v_add_co_u32_e64 v5, s[0:1], s15, v5
	v_addc_co_u32_e64 v6, s[0:1], 0, v6, s[0:1]
	v_add_co_u32_e64 v7, s[0:1], s16, v7
	v_addc_co_u32_e64 v8, s[0:1], 0, v8, s[0:1]
	v_cmp_le_i32_e64 s[0:1], s13, v4
	s_or_b64 s[6:7], s[0:1], s[6:7]
	s_waitcnt vmcnt(0)
	v_add_f16_e32 v2, v16, v2
	global_store_short v[14:15], v2, off
	s_andn2_b64 exec, exec, s[6:7]
	s_cbranch_execnz .LBB10_8
	s_branch .LBB10_5
.LBB10_9:
	s_endpgm
.LBB10_10:
                                        ; implicit-def: $sgpr14_sgpr15
	s_load_dword s3, s[4:5], 0x44
	s_branch .LBB10_2
	.section	.rodata,"a",@progbits
	.p2align	6, 0x0
	.amdhsa_kernel _ZN2at6native12_GLOBAL__N_120adaptivemaxgradinputIN3c104HalfEEEvPT_PKS5_PKliiiiiil
		.amdhsa_group_segment_fixed_size 0
		.amdhsa_private_segment_fixed_size 0
		.amdhsa_kernarg_size 312
		.amdhsa_user_sgpr_count 6
		.amdhsa_user_sgpr_private_segment_buffer 1
		.amdhsa_user_sgpr_dispatch_ptr 0
		.amdhsa_user_sgpr_queue_ptr 0
		.amdhsa_user_sgpr_kernarg_segment_ptr 1
		.amdhsa_user_sgpr_dispatch_id 0
		.amdhsa_user_sgpr_flat_scratch_init 0
		.amdhsa_user_sgpr_private_segment_size 0
		.amdhsa_uses_dynamic_stack 0
		.amdhsa_system_sgpr_private_segment_wavefront_offset 0
		.amdhsa_system_sgpr_workgroup_id_x 1
		.amdhsa_system_sgpr_workgroup_id_y 1
		.amdhsa_system_sgpr_workgroup_id_z 0
		.amdhsa_system_sgpr_workgroup_info 0
		.amdhsa_system_vgpr_workitem_id 1
		.amdhsa_next_free_vgpr 18
		.amdhsa_next_free_sgpr 31
		.amdhsa_reserve_vcc 1
		.amdhsa_reserve_flat_scratch 0
		.amdhsa_float_round_mode_32 0
		.amdhsa_float_round_mode_16_64 0
		.amdhsa_float_denorm_mode_32 3
		.amdhsa_float_denorm_mode_16_64 3
		.amdhsa_dx10_clamp 1
		.amdhsa_ieee_mode 1
		.amdhsa_fp16_overflow 0
		.amdhsa_exception_fp_ieee_invalid_op 0
		.amdhsa_exception_fp_denorm_src 0
		.amdhsa_exception_fp_ieee_div_zero 0
		.amdhsa_exception_fp_ieee_overflow 0
		.amdhsa_exception_fp_ieee_underflow 0
		.amdhsa_exception_fp_ieee_inexact 0
		.amdhsa_exception_int_div_zero 0
	.end_amdhsa_kernel
	.section	.text._ZN2at6native12_GLOBAL__N_120adaptivemaxgradinputIN3c104HalfEEEvPT_PKS5_PKliiiiiil,"axG",@progbits,_ZN2at6native12_GLOBAL__N_120adaptivemaxgradinputIN3c104HalfEEEvPT_PKS5_PKliiiiiil,comdat
.Lfunc_end10:
	.size	_ZN2at6native12_GLOBAL__N_120adaptivemaxgradinputIN3c104HalfEEEvPT_PKS5_PKliiiiiil, .Lfunc_end10-_ZN2at6native12_GLOBAL__N_120adaptivemaxgradinputIN3c104HalfEEEvPT_PKS5_PKliiiiiil
                                        ; -- End function
	.set _ZN2at6native12_GLOBAL__N_120adaptivemaxgradinputIN3c104HalfEEEvPT_PKS5_PKliiiiiil.num_vgpr, 18
	.set _ZN2at6native12_GLOBAL__N_120adaptivemaxgradinputIN3c104HalfEEEvPT_PKS5_PKliiiiiil.num_agpr, 0
	.set _ZN2at6native12_GLOBAL__N_120adaptivemaxgradinputIN3c104HalfEEEvPT_PKS5_PKliiiiiil.numbered_sgpr, 31
	.set _ZN2at6native12_GLOBAL__N_120adaptivemaxgradinputIN3c104HalfEEEvPT_PKS5_PKliiiiiil.num_named_barrier, 0
	.set _ZN2at6native12_GLOBAL__N_120adaptivemaxgradinputIN3c104HalfEEEvPT_PKS5_PKliiiiiil.private_seg_size, 0
	.set _ZN2at6native12_GLOBAL__N_120adaptivemaxgradinputIN3c104HalfEEEvPT_PKS5_PKliiiiiil.uses_vcc, 1
	.set _ZN2at6native12_GLOBAL__N_120adaptivemaxgradinputIN3c104HalfEEEvPT_PKS5_PKliiiiiil.uses_flat_scratch, 0
	.set _ZN2at6native12_GLOBAL__N_120adaptivemaxgradinputIN3c104HalfEEEvPT_PKS5_PKliiiiiil.has_dyn_sized_stack, 0
	.set _ZN2at6native12_GLOBAL__N_120adaptivemaxgradinputIN3c104HalfEEEvPT_PKS5_PKliiiiiil.has_recursion, 0
	.set _ZN2at6native12_GLOBAL__N_120adaptivemaxgradinputIN3c104HalfEEEvPT_PKS5_PKliiiiiil.has_indirect_call, 0
	.section	.AMDGPU.csdata,"",@progbits
; Kernel info:
; codeLenInByte = 1188
; TotalNumSgprs: 35
; NumVgprs: 18
; ScratchSize: 0
; MemoryBound: 0
; FloatMode: 240
; IeeeMode: 1
; LDSByteSize: 0 bytes/workgroup (compile time only)
; SGPRBlocks: 4
; VGPRBlocks: 4
; NumSGPRsForWavesPerEU: 35
; NumVGPRsForWavesPerEU: 18
; Occupancy: 10
; WaveLimiterHint : 1
; COMPUTE_PGM_RSRC2:SCRATCH_EN: 0
; COMPUTE_PGM_RSRC2:USER_SGPR: 6
; COMPUTE_PGM_RSRC2:TRAP_HANDLER: 0
; COMPUTE_PGM_RSRC2:TGID_X_EN: 1
; COMPUTE_PGM_RSRC2:TGID_Y_EN: 1
; COMPUTE_PGM_RSRC2:TGID_Z_EN: 0
; COMPUTE_PGM_RSRC2:TIDIG_COMP_CNT: 1
	.section	.text._ZN2at6native12_GLOBAL__N_120adaptivemaxgradinputIN3c108BFloat16EEEvPT_PKS5_PKliiiiiil,"axG",@progbits,_ZN2at6native12_GLOBAL__N_120adaptivemaxgradinputIN3c108BFloat16EEEvPT_PKS5_PKliiiiiil,comdat
	.globl	_ZN2at6native12_GLOBAL__N_120adaptivemaxgradinputIN3c108BFloat16EEEvPT_PKS5_PKliiiiiil ; -- Begin function _ZN2at6native12_GLOBAL__N_120adaptivemaxgradinputIN3c108BFloat16EEEvPT_PKS5_PKliiiiiil
	.p2align	8
	.type	_ZN2at6native12_GLOBAL__N_120adaptivemaxgradinputIN3c108BFloat16EEEvPT_PKS5_PKliiiiiil,@function
_ZN2at6native12_GLOBAL__N_120adaptivemaxgradinputIN3c108BFloat16EEEvPT_PKS5_PKliiiiiil: ; @_ZN2at6native12_GLOBAL__N_120adaptivemaxgradinputIN3c108BFloat16EEEvPT_PKS5_PKliiiiiil
; %bb.0:
	s_load_dwordx8 s[8:15], s[4:5], 0x18
	s_mov_b32 s16, 0
	s_waitcnt lgkmcnt(0)
	s_add_u32 s0, s14, s6
	s_addc_u32 s1, s15, 0
	s_ashr_i32 s3, s11, 31
	s_mov_b32 s2, s11
	s_or_b64 s[14:15], s[0:1], s[2:3]
	s_mov_b32 s17, s15
	s_cmp_lg_u64 s[16:17], 0
	s_cbranch_scc0 .LBB11_10
; %bb.1:
	s_ashr_i32 s14, s3, 31
	s_add_u32 s16, s2, s14
	s_mov_b32 s15, s14
	s_addc_u32 s17, s3, s14
	s_xor_b64 s[18:19], s[16:17], s[14:15]
	v_cvt_f32_u32_e32 v2, s18
	v_cvt_f32_u32_e32 v3, s19
	s_sub_u32 s3, 0, s18
	s_subb_u32 s6, 0, s19
	v_madmk_f32 v2, v3, 0x4f800000, v2
	v_rcp_f32_e32 v2, v2
	v_mul_f32_e32 v2, 0x5f7ffffc, v2
	v_mul_f32_e32 v3, 0x2f800000, v2
	v_trunc_f32_e32 v3, v3
	v_madmk_f32 v2, v3, 0xcf800000, v2
	v_cvt_u32_f32_e32 v3, v3
	v_cvt_u32_f32_e32 v2, v2
	v_readfirstlane_b32 s11, v3
	v_readfirstlane_b32 s20, v2
	s_mul_i32 s21, s3, s11
	s_mul_hi_u32 s23, s3, s20
	s_mul_i32 s22, s6, s20
	s_add_i32 s21, s23, s21
	s_add_i32 s21, s21, s22
	s_mul_i32 s24, s3, s20
	s_mul_i32 s23, s20, s21
	s_mul_hi_u32 s25, s20, s24
	s_mul_hi_u32 s22, s20, s21
	s_add_u32 s23, s25, s23
	s_addc_u32 s22, 0, s22
	s_mul_hi_u32 s26, s11, s24
	s_mul_i32 s24, s11, s24
	s_add_u32 s23, s23, s24
	s_mul_hi_u32 s25, s11, s21
	s_addc_u32 s22, s22, s26
	s_addc_u32 s23, s25, 0
	s_mul_i32 s21, s11, s21
	s_add_u32 s21, s22, s21
	s_addc_u32 s22, 0, s23
	s_add_u32 s23, s20, s21
	s_cselect_b64 s[20:21], -1, 0
	s_cmp_lg_u64 s[20:21], 0
	s_addc_u32 s11, s11, s22
	s_mul_i32 s20, s3, s11
	s_mul_hi_u32 s21, s3, s23
	s_add_i32 s20, s21, s20
	s_mul_i32 s6, s6, s23
	s_add_i32 s20, s20, s6
	s_mul_i32 s3, s3, s23
	s_mul_hi_u32 s21, s11, s3
	s_mul_i32 s22, s11, s3
	s_mul_i32 s25, s23, s20
	s_mul_hi_u32 s3, s23, s3
	s_mul_hi_u32 s24, s23, s20
	s_add_u32 s3, s3, s25
	s_addc_u32 s24, 0, s24
	s_add_u32 s3, s3, s22
	s_mul_hi_u32 s6, s11, s20
	s_addc_u32 s3, s24, s21
	s_addc_u32 s6, s6, 0
	s_mul_i32 s20, s11, s20
	s_add_u32 s3, s3, s20
	s_addc_u32 s6, 0, s6
	s_add_u32 s3, s23, s3
	s_cselect_b64 s[20:21], -1, 0
	s_cmp_lg_u64 s[20:21], 0
	s_addc_u32 s6, s11, s6
	s_ashr_i32 s20, s1, 31
	s_add_u32 s22, s0, s20
	s_mov_b32 s21, s20
	s_addc_u32 s23, s1, s20
	s_xor_b64 s[22:23], s[22:23], s[20:21]
	s_mul_i32 s24, s22, s6
	s_mul_hi_u32 s25, s22, s3
	s_mul_hi_u32 s11, s22, s6
	s_add_u32 s24, s25, s24
	s_addc_u32 s11, 0, s11
	s_mul_hi_u32 s26, s23, s3
	s_mul_i32 s3, s23, s3
	s_add_u32 s3, s24, s3
	s_mul_hi_u32 s25, s23, s6
	s_addc_u32 s3, s11, s26
	s_addc_u32 s11, s25, 0
	s_mul_i32 s6, s23, s6
	s_add_u32 s3, s3, s6
	s_addc_u32 s6, 0, s11
	s_mul_i32 s11, s18, s6
	s_mul_hi_u32 s24, s18, s3
	s_add_i32 s11, s24, s11
	s_mul_i32 s24, s19, s3
	s_add_i32 s11, s11, s24
	s_sub_i32 s26, s23, s11
	s_mul_i32 s24, s18, s3
	s_sub_u32 s22, s22, s24
	s_cselect_b64 s[24:25], -1, 0
	s_cmp_lg_u64 s[24:25], 0
	s_subb_u32 s28, s26, s19
	s_sub_u32 s29, s22, s18
	s_cselect_b64 s[26:27], -1, 0
	s_cmp_lg_u64 s[26:27], 0
	s_subb_u32 s26, s28, 0
	s_cmp_ge_u32 s26, s19
	s_cselect_b32 s27, -1, 0
	s_cmp_ge_u32 s29, s18
	s_cselect_b32 s28, -1, 0
	s_cmp_eq_u32 s26, s19
	s_cselect_b32 s26, s28, s27
	s_add_u32 s27, s3, 1
	s_addc_u32 s28, s6, 0
	s_add_u32 s29, s3, 2
	s_addc_u32 s30, s6, 0
	s_cmp_lg_u32 s26, 0
	s_cselect_b32 s26, s29, s27
	s_cselect_b32 s27, s30, s28
	s_cmp_lg_u64 s[24:25], 0
	s_subb_u32 s11, s23, s11
	s_cmp_ge_u32 s11, s19
	s_cselect_b32 s23, -1, 0
	s_cmp_ge_u32 s22, s18
	s_cselect_b32 s18, -1, 0
	s_cmp_eq_u32 s11, s19
	s_cselect_b32 s11, s18, s23
	s_cmp_lg_u32 s11, 0
	s_cselect_b32 s19, s27, s6
	s_cselect_b32 s18, s26, s3
	s_xor_b64 s[14:15], s[20:21], s[14:15]
	s_xor_b64 s[18:19], s[18:19], s[14:15]
	s_sub_u32 s14, s18, s14
	s_load_dword s3, s[4:5], 0x44
	s_cbranch_execnz .LBB11_3
.LBB11_2:
	v_cvt_f32_u32_e32 v2, s2
	s_sub_i32 s6, 0, s2
	v_rcp_iflag_f32_e32 v2, v2
	v_mul_f32_e32 v2, 0x4f7ffffe, v2
	v_cvt_u32_f32_e32 v2, v2
	v_readfirstlane_b32 s11, v2
	s_mul_i32 s6, s6, s11
	s_mul_hi_u32 s6, s11, s6
	s_add_i32 s11, s11, s6
	s_mul_hi_u32 s6, s0, s11
	s_mul_i32 s14, s6, s2
	s_sub_i32 s14, s0, s14
	s_add_i32 s11, s6, 1
	s_sub_i32 s15, s14, s2
	s_cmp_ge_u32 s14, s2
	s_cselect_b32 s6, s11, s6
	s_cselect_b32 s14, s15, s14
	s_add_i32 s11, s6, 1
	s_cmp_ge_u32 s14, s2
	s_cselect_b32 s14, s11, s6
.LBB11_3:
	s_waitcnt lgkmcnt(0)
	s_lshr_b32 s2, s3, 16
	s_mul_i32 s7, s7, s2
	v_add_u32_e32 v9, s7, v1
	v_cmp_gt_i32_e32 vcc, s12, v9
	s_and_saveexec_b64 s[6:7], vcc
	s_cbranch_execz .LBB11_9
; %bb.4:
	s_load_dword s11, s[4:5], 0x3c
	s_load_dwordx4 s[16:19], s[4:5], 0x0
	s_load_dwordx2 s[6:7], s[4:5], 0x10
	s_mul_i32 s4, s9, s8
	s_mul_i32 s4, s4, s10
	;; [unrolled: 1-line block ×3, first 2 shown]
	s_ashr_i32 s5, s4, 31
	s_lshl_b64 s[4:5], s[4:5], 1
	s_waitcnt lgkmcnt(0)
	s_add_u32 s8, s16, s4
	s_addc_u32 s9, s17, s5
	s_ashr_i32 s5, s13, 31
	s_mul_i32 s10, s11, s2
	s_and_b32 s11, s3, 0xffff
	s_mul_hi_u32 s2, s0, s13
	s_mul_i32 s3, s0, s5
	s_ashr_i32 s4, s12, 31
	s_add_i32 s2, s2, s3
	s_mul_i32 s1, s1, s13
	s_mul_i32 s0, s0, s13
	s_add_i32 s1, s2, s1
	s_mul_i32 s2, s0, s4
	s_mul_hi_u32 s3, s0, s12
	s_add_i32 s2, s3, s2
	s_mul_i32 s1, s1, s12
	s_add_i32 s3, s2, s1
	s_mul_i32 s2, s0, s12
	s_lshl_b64 s[0:1], s[2:3], 1
	s_add_u32 s0, s18, s0
	v_lshlrev_b32_e32 v2, 1, v0
	s_addc_u32 s1, s19, s1
	v_mov_b32_e32 v3, s1
	v_add_co_u32_e64 v10, s[0:1], s0, v2
	v_addc_co_u32_e64 v11, s[0:1], 0, v3, s[0:1]
	s_lshl_b32 s15, s11, 1
	s_lshl_b64 s[0:1], s[2:3], 3
	v_mul_lo_u32 v3, s13, v9
	s_add_u32 s0, s6, s0
	v_lshlrev_b32_e32 v2, 3, v0
	s_addc_u32 s1, s7, s1
	v_mov_b32_e32 v4, s1
	v_add_co_u32_e64 v12, s[0:1], s0, v2
	v_cmp_gt_i32_e32 vcc, s13, v0
	v_mov_b32_e32 v1, 0
	s_mul_i32 s14, s10, s13
	v_addc_co_u32_e64 v13, s[0:1], 0, v4, s[0:1]
	s_lshl_b32 s16, s11, 3
	s_mov_b64 s[2:3], 0
	s_movk_i32 s17, 0x7fff
	v_mov_b32_e32 v14, 0x7fc0
	s_branch .LBB11_6
.LBB11_5:                               ;   in Loop: Header=BB11_6 Depth=1
	s_or_b64 exec, exec, s[4:5]
	v_add_u32_e32 v9, s10, v9
	v_cmp_le_i32_e64 s[0:1], s12, v9
	s_or_b64 s[2:3], s[0:1], s[2:3]
	v_add_u32_e32 v3, s14, v3
	s_andn2_b64 exec, exec, s[2:3]
	s_cbranch_execz .LBB11_9
.LBB11_6:                               ; =>This Loop Header: Depth=1
                                        ;     Child Loop BB11_8 Depth 2
	s_and_saveexec_b64 s[4:5], vcc
	s_cbranch_execz .LBB11_5
; %bb.7:                                ;   in Loop: Header=BB11_6 Depth=1
	v_ashrrev_i32_e32 v4, 31, v3
	v_lshlrev_b64 v[5:6], 1, v[3:4]
	v_lshlrev_b64 v[7:8], 3, v[3:4]
	v_add_co_u32_e64 v5, s[0:1], v10, v5
	v_addc_co_u32_e64 v6, s[0:1], v11, v6, s[0:1]
	v_add_co_u32_e64 v7, s[0:1], v12, v7
	v_addc_co_u32_e64 v8, s[0:1], v13, v8, s[0:1]
	s_mov_b64 s[6:7], 0
	v_mov_b32_e32 v4, v0
.LBB11_8:                               ;   Parent Loop BB11_6 Depth=1
                                        ; =>  This Inner Loop Header: Depth=2
	global_load_dword v2, v[7:8], off
	v_mov_b32_e32 v17, s9
	global_load_ushort v18, v[5:6], off
	v_add_u32_e32 v4, s11, v4
	s_waitcnt vmcnt(1)
	v_ashrrev_i64 v[15:16], 31, v[1:2]
	v_add_co_u32_e64 v15, s[0:1], s8, v15
	v_addc_co_u32_e64 v16, s[0:1], v17, v16, s[0:1]
	global_load_ushort v2, v[15:16], off
	v_add_co_u32_e64 v5, s[0:1], s15, v5
	v_addc_co_u32_e64 v6, s[0:1], 0, v6, s[0:1]
	s_waitcnt vmcnt(1)
	v_lshlrev_b32_e32 v17, 16, v18
	v_add_co_u32_e64 v7, s[0:1], s16, v7
	v_addc_co_u32_e64 v8, s[0:1], 0, v8, s[0:1]
	v_cmp_le_i32_e64 s[0:1], s13, v4
	s_or_b64 s[6:7], s[0:1], s[6:7]
	s_waitcnt vmcnt(0)
	v_lshlrev_b32_e32 v2, 16, v2
	v_add_f32_e32 v2, v17, v2
	v_bfe_u32 v17, v2, 16, 1
	v_add3_u32 v17, v2, v17, s17
	v_lshrrev_b32_e32 v17, 16, v17
	v_cmp_o_f32_e64 s[0:1], v2, v2
	v_cndmask_b32_e64 v2, v14, v17, s[0:1]
	global_store_short v[15:16], v2, off
	s_andn2_b64 exec, exec, s[6:7]
	s_cbranch_execnz .LBB11_8
	s_branch .LBB11_5
.LBB11_9:
	s_endpgm
.LBB11_10:
                                        ; implicit-def: $sgpr14_sgpr15
	s_load_dword s3, s[4:5], 0x44
	s_branch .LBB11_2
	.section	.rodata,"a",@progbits
	.p2align	6, 0x0
	.amdhsa_kernel _ZN2at6native12_GLOBAL__N_120adaptivemaxgradinputIN3c108BFloat16EEEvPT_PKS5_PKliiiiiil
		.amdhsa_group_segment_fixed_size 0
		.amdhsa_private_segment_fixed_size 0
		.amdhsa_kernarg_size 312
		.amdhsa_user_sgpr_count 6
		.amdhsa_user_sgpr_private_segment_buffer 1
		.amdhsa_user_sgpr_dispatch_ptr 0
		.amdhsa_user_sgpr_queue_ptr 0
		.amdhsa_user_sgpr_kernarg_segment_ptr 1
		.amdhsa_user_sgpr_dispatch_id 0
		.amdhsa_user_sgpr_flat_scratch_init 0
		.amdhsa_user_sgpr_private_segment_size 0
		.amdhsa_uses_dynamic_stack 0
		.amdhsa_system_sgpr_private_segment_wavefront_offset 0
		.amdhsa_system_sgpr_workgroup_id_x 1
		.amdhsa_system_sgpr_workgroup_id_y 1
		.amdhsa_system_sgpr_workgroup_id_z 0
		.amdhsa_system_sgpr_workgroup_info 0
		.amdhsa_system_vgpr_workitem_id 1
		.amdhsa_next_free_vgpr 19
		.amdhsa_next_free_sgpr 31
		.amdhsa_reserve_vcc 1
		.amdhsa_reserve_flat_scratch 0
		.amdhsa_float_round_mode_32 0
		.amdhsa_float_round_mode_16_64 0
		.amdhsa_float_denorm_mode_32 3
		.amdhsa_float_denorm_mode_16_64 3
		.amdhsa_dx10_clamp 1
		.amdhsa_ieee_mode 1
		.amdhsa_fp16_overflow 0
		.amdhsa_exception_fp_ieee_invalid_op 0
		.amdhsa_exception_fp_denorm_src 0
		.amdhsa_exception_fp_ieee_div_zero 0
		.amdhsa_exception_fp_ieee_overflow 0
		.amdhsa_exception_fp_ieee_underflow 0
		.amdhsa_exception_fp_ieee_inexact 0
		.amdhsa_exception_int_div_zero 0
	.end_amdhsa_kernel
	.section	.text._ZN2at6native12_GLOBAL__N_120adaptivemaxgradinputIN3c108BFloat16EEEvPT_PKS5_PKliiiiiil,"axG",@progbits,_ZN2at6native12_GLOBAL__N_120adaptivemaxgradinputIN3c108BFloat16EEEvPT_PKS5_PKliiiiiil,comdat
.Lfunc_end11:
	.size	_ZN2at6native12_GLOBAL__N_120adaptivemaxgradinputIN3c108BFloat16EEEvPT_PKS5_PKliiiiiil, .Lfunc_end11-_ZN2at6native12_GLOBAL__N_120adaptivemaxgradinputIN3c108BFloat16EEEvPT_PKS5_PKliiiiiil
                                        ; -- End function
	.set _ZN2at6native12_GLOBAL__N_120adaptivemaxgradinputIN3c108BFloat16EEEvPT_PKS5_PKliiiiiil.num_vgpr, 19
	.set _ZN2at6native12_GLOBAL__N_120adaptivemaxgradinputIN3c108BFloat16EEEvPT_PKS5_PKliiiiiil.num_agpr, 0
	.set _ZN2at6native12_GLOBAL__N_120adaptivemaxgradinputIN3c108BFloat16EEEvPT_PKS5_PKliiiiiil.numbered_sgpr, 31
	.set _ZN2at6native12_GLOBAL__N_120adaptivemaxgradinputIN3c108BFloat16EEEvPT_PKS5_PKliiiiiil.num_named_barrier, 0
	.set _ZN2at6native12_GLOBAL__N_120adaptivemaxgradinputIN3c108BFloat16EEEvPT_PKS5_PKliiiiiil.private_seg_size, 0
	.set _ZN2at6native12_GLOBAL__N_120adaptivemaxgradinputIN3c108BFloat16EEEvPT_PKS5_PKliiiiiil.uses_vcc, 1
	.set _ZN2at6native12_GLOBAL__N_120adaptivemaxgradinputIN3c108BFloat16EEEvPT_PKS5_PKliiiiiil.uses_flat_scratch, 0
	.set _ZN2at6native12_GLOBAL__N_120adaptivemaxgradinputIN3c108BFloat16EEEvPT_PKS5_PKliiiiiil.has_dyn_sized_stack, 0
	.set _ZN2at6native12_GLOBAL__N_120adaptivemaxgradinputIN3c108BFloat16EEEvPT_PKS5_PKliiiiiil.has_recursion, 0
	.set _ZN2at6native12_GLOBAL__N_120adaptivemaxgradinputIN3c108BFloat16EEEvPT_PKS5_PKliiiiiil.has_indirect_call, 0
	.section	.AMDGPU.csdata,"",@progbits
; Kernel info:
; codeLenInByte = 1248
; TotalNumSgprs: 35
; NumVgprs: 19
; ScratchSize: 0
; MemoryBound: 0
; FloatMode: 240
; IeeeMode: 1
; LDSByteSize: 0 bytes/workgroup (compile time only)
; SGPRBlocks: 4
; VGPRBlocks: 4
; NumSGPRsForWavesPerEU: 35
; NumVGPRsForWavesPerEU: 19
; Occupancy: 10
; WaveLimiterHint : 1
; COMPUTE_PGM_RSRC2:SCRATCH_EN: 0
; COMPUTE_PGM_RSRC2:USER_SGPR: 6
; COMPUTE_PGM_RSRC2:TRAP_HANDLER: 0
; COMPUTE_PGM_RSRC2:TGID_X_EN: 1
; COMPUTE_PGM_RSRC2:TGID_Y_EN: 1
; COMPUTE_PGM_RSRC2:TGID_Z_EN: 0
; COMPUTE_PGM_RSRC2:TIDIG_COMP_CNT: 1
	.section	.AMDGPU.gpr_maximums,"",@progbits
	.set amdgpu.max_num_vgpr, 0
	.set amdgpu.max_num_agpr, 0
	.set amdgpu.max_num_sgpr, 0
	.section	.AMDGPU.csdata,"",@progbits
	.type	__hip_cuid_e5b277b9c82d93e2,@object ; @__hip_cuid_e5b277b9c82d93e2
	.section	.bss,"aw",@nobits
	.globl	__hip_cuid_e5b277b9c82d93e2
__hip_cuid_e5b277b9c82d93e2:
	.byte	0                               ; 0x0
	.size	__hip_cuid_e5b277b9c82d93e2, 1

	.ident	"AMD clang version 22.0.0git (https://github.com/RadeonOpenCompute/llvm-project roc-7.2.4 26084 f58b06dce1f9c15707c5f808fd002e18c2accf7e)"
	.section	".note.GNU-stack","",@progbits
	.addrsig
	.addrsig_sym __hip_cuid_e5b277b9c82d93e2
	.amdgpu_metadata
---
amdhsa.kernels:
  - .args:
      - .address_space:  global
        .offset:         0
        .size:           8
        .value_kind:     global_buffer
      - .address_space:  global
        .offset:         8
        .size:           8
        .value_kind:     global_buffer
      - .address_space:  global
        .offset:         16
        .size:           8
        .value_kind:     global_buffer
      - .offset:         24
        .size:           4
        .value_kind:     by_value
      - .offset:         28
        .size:           4
        .value_kind:     by_value
      - .offset:         32
        .size:           4
        .value_kind:     by_value
      - .offset:         36
        .size:           4
        .value_kind:     by_value
      - .offset:         40
        .size:           4
        .value_kind:     by_value
      - .offset:         44
        .size:           4
        .value_kind:     by_value
      - .offset:         48
        .size:           8
        .value_kind:     by_value
      - .offset:         56
        .size:           8
        .value_kind:     by_value
      - .offset:         64
        .size:           8
        .value_kind:     by_value
      - .offset:         72
        .size:           8
        .value_kind:     by_value
      - .offset:         80
        .size:           8
        .value_kind:     by_value
      - .offset:         88
        .size:           4
        .value_kind:     hidden_block_count_x
      - .offset:         92
        .size:           4
        .value_kind:     hidden_block_count_y
      - .offset:         96
        .size:           4
        .value_kind:     hidden_block_count_z
      - .offset:         100
        .size:           2
        .value_kind:     hidden_group_size_x
      - .offset:         102
        .size:           2
        .value_kind:     hidden_group_size_y
      - .offset:         104
        .size:           2
        .value_kind:     hidden_group_size_z
      - .offset:         106
        .size:           2
        .value_kind:     hidden_remainder_x
      - .offset:         108
        .size:           2
        .value_kind:     hidden_remainder_y
      - .offset:         110
        .size:           2
        .value_kind:     hidden_remainder_z
      - .offset:         128
        .size:           8
        .value_kind:     hidden_global_offset_x
      - .offset:         136
        .size:           8
        .value_kind:     hidden_global_offset_y
      - .offset:         144
        .size:           8
        .value_kind:     hidden_global_offset_z
      - .offset:         152
        .size:           2
        .value_kind:     hidden_grid_dims
    .group_segment_fixed_size: 0
    .kernarg_segment_align: 8
    .kernarg_segment_size: 344
    .language:       OpenCL C
    .language_version:
      - 2
      - 0
    .max_flat_workgroup_size: 1024
    .name:           _ZN2at6native12_GLOBAL__N_115adaptivemaxpoolIdEEvPKT_PS3_Pliiiiiilllll
    .private_segment_fixed_size: 0
    .sgpr_count:     64
    .sgpr_spill_count: 0
    .symbol:         _ZN2at6native12_GLOBAL__N_115adaptivemaxpoolIdEEvPKT_PS3_Pliiiiiilllll.kd
    .uniform_work_group_size: 1
    .uses_dynamic_stack: false
    .vgpr_count:     32
    .vgpr_spill_count: 0
    .wavefront_size: 64
  - .args:
      - .address_space:  global
        .offset:         0
        .size:           8
        .value_kind:     global_buffer
      - .address_space:  global
        .offset:         8
        .size:           8
        .value_kind:     global_buffer
      - .address_space:  global
        .offset:         16
        .size:           8
        .value_kind:     global_buffer
      - .offset:         24
        .size:           4
        .value_kind:     by_value
      - .offset:         28
        .size:           4
        .value_kind:     by_value
      - .offset:         32
        .size:           4
        .value_kind:     by_value
      - .offset:         36
        .size:           4
        .value_kind:     by_value
      - .offset:         40
        .size:           4
        .value_kind:     by_value
      - .offset:         44
        .size:           4
        .value_kind:     by_value
      - .offset:         48
        .size:           8
        .value_kind:     by_value
      - .offset:         56
        .size:           8
        .value_kind:     by_value
      - .offset:         64
        .size:           8
        .value_kind:     by_value
      - .offset:         72
        .size:           8
        .value_kind:     by_value
      - .offset:         80
        .size:           8
        .value_kind:     by_value
      - .offset:         88
        .size:           4
        .value_kind:     hidden_block_count_x
      - .offset:         92
        .size:           4
        .value_kind:     hidden_block_count_y
      - .offset:         96
        .size:           4
        .value_kind:     hidden_block_count_z
      - .offset:         100
        .size:           2
        .value_kind:     hidden_group_size_x
      - .offset:         102
        .size:           2
        .value_kind:     hidden_group_size_y
      - .offset:         104
        .size:           2
        .value_kind:     hidden_group_size_z
      - .offset:         106
        .size:           2
        .value_kind:     hidden_remainder_x
      - .offset:         108
        .size:           2
        .value_kind:     hidden_remainder_y
      - .offset:         110
        .size:           2
        .value_kind:     hidden_remainder_z
      - .offset:         128
        .size:           8
        .value_kind:     hidden_global_offset_x
      - .offset:         136
        .size:           8
        .value_kind:     hidden_global_offset_y
      - .offset:         144
        .size:           8
        .value_kind:     hidden_global_offset_z
      - .offset:         152
        .size:           2
        .value_kind:     hidden_grid_dims
    .group_segment_fixed_size: 0
    .kernarg_segment_align: 8
    .kernarg_segment_size: 344
    .language:       OpenCL C
    .language_version:
      - 2
      - 0
    .max_flat_workgroup_size: 1024
    .name:           _ZN2at6native12_GLOBAL__N_115adaptivemaxpoolIfEEvPKT_PS3_Pliiiiiilllll
    .private_segment_fixed_size: 0
    .sgpr_count:     64
    .sgpr_spill_count: 0
    .symbol:         _ZN2at6native12_GLOBAL__N_115adaptivemaxpoolIfEEvPKT_PS3_Pliiiiiilllll.kd
    .uniform_work_group_size: 1
    .uses_dynamic_stack: false
    .vgpr_count:     30
    .vgpr_spill_count: 0
    .wavefront_size: 64
  - .args:
      - .address_space:  global
        .offset:         0
        .size:           8
        .value_kind:     global_buffer
      - .address_space:  global
        .offset:         8
        .size:           8
        .value_kind:     global_buffer
      - .address_space:  global
        .offset:         16
        .size:           8
        .value_kind:     global_buffer
      - .offset:         24
        .size:           4
        .value_kind:     by_value
      - .offset:         28
        .size:           4
        .value_kind:     by_value
      - .offset:         32
        .size:           4
        .value_kind:     by_value
      - .offset:         36
        .size:           4
        .value_kind:     by_value
      - .offset:         40
        .size:           4
        .value_kind:     by_value
      - .offset:         44
        .size:           4
        .value_kind:     by_value
      - .offset:         48
        .size:           8
        .value_kind:     by_value
      - .offset:         56
        .size:           8
        .value_kind:     by_value
      - .offset:         64
        .size:           8
        .value_kind:     by_value
      - .offset:         72
        .size:           8
        .value_kind:     by_value
      - .offset:         80
        .size:           8
        .value_kind:     by_value
      - .offset:         88
        .size:           4
        .value_kind:     hidden_block_count_x
      - .offset:         92
        .size:           4
        .value_kind:     hidden_block_count_y
      - .offset:         96
        .size:           4
        .value_kind:     hidden_block_count_z
      - .offset:         100
        .size:           2
        .value_kind:     hidden_group_size_x
      - .offset:         102
        .size:           2
        .value_kind:     hidden_group_size_y
      - .offset:         104
        .size:           2
        .value_kind:     hidden_group_size_z
      - .offset:         106
        .size:           2
        .value_kind:     hidden_remainder_x
      - .offset:         108
        .size:           2
        .value_kind:     hidden_remainder_y
      - .offset:         110
        .size:           2
        .value_kind:     hidden_remainder_z
      - .offset:         128
        .size:           8
        .value_kind:     hidden_global_offset_x
      - .offset:         136
        .size:           8
        .value_kind:     hidden_global_offset_y
      - .offset:         144
        .size:           8
        .value_kind:     hidden_global_offset_z
      - .offset:         152
        .size:           2
        .value_kind:     hidden_grid_dims
    .group_segment_fixed_size: 0
    .kernarg_segment_align: 8
    .kernarg_segment_size: 344
    .language:       OpenCL C
    .language_version:
      - 2
      - 0
    .max_flat_workgroup_size: 1024
    .name:           _ZN2at6native12_GLOBAL__N_115adaptivemaxpoolIN3c104HalfEEEvPKT_PS5_Pliiiiiilllll
    .private_segment_fixed_size: 0
    .sgpr_count:     64
    .sgpr_spill_count: 0
    .symbol:         _ZN2at6native12_GLOBAL__N_115adaptivemaxpoolIN3c104HalfEEEvPKT_PS5_Pliiiiiilllll.kd
    .uniform_work_group_size: 1
    .uses_dynamic_stack: false
    .vgpr_count:     30
    .vgpr_spill_count: 0
    .wavefront_size: 64
  - .args:
      - .address_space:  global
        .offset:         0
        .size:           8
        .value_kind:     global_buffer
      - .address_space:  global
        .offset:         8
        .size:           8
        .value_kind:     global_buffer
      - .address_space:  global
        .offset:         16
        .size:           8
        .value_kind:     global_buffer
      - .offset:         24
        .size:           4
        .value_kind:     by_value
      - .offset:         28
        .size:           4
        .value_kind:     by_value
      - .offset:         32
        .size:           4
        .value_kind:     by_value
      - .offset:         36
        .size:           4
        .value_kind:     by_value
      - .offset:         40
        .size:           4
        .value_kind:     by_value
      - .offset:         44
        .size:           4
        .value_kind:     by_value
      - .offset:         48
        .size:           8
        .value_kind:     by_value
      - .offset:         56
        .size:           8
        .value_kind:     by_value
      - .offset:         64
        .size:           8
        .value_kind:     by_value
      - .offset:         72
        .size:           8
        .value_kind:     by_value
      - .offset:         80
        .size:           8
        .value_kind:     by_value
      - .offset:         88
        .size:           4
        .value_kind:     hidden_block_count_x
      - .offset:         92
        .size:           4
        .value_kind:     hidden_block_count_y
      - .offset:         96
        .size:           4
        .value_kind:     hidden_block_count_z
      - .offset:         100
        .size:           2
        .value_kind:     hidden_group_size_x
      - .offset:         102
        .size:           2
        .value_kind:     hidden_group_size_y
      - .offset:         104
        .size:           2
        .value_kind:     hidden_group_size_z
      - .offset:         106
        .size:           2
        .value_kind:     hidden_remainder_x
      - .offset:         108
        .size:           2
        .value_kind:     hidden_remainder_y
      - .offset:         110
        .size:           2
        .value_kind:     hidden_remainder_z
      - .offset:         128
        .size:           8
        .value_kind:     hidden_global_offset_x
      - .offset:         136
        .size:           8
        .value_kind:     hidden_global_offset_y
      - .offset:         144
        .size:           8
        .value_kind:     hidden_global_offset_z
      - .offset:         152
        .size:           2
        .value_kind:     hidden_grid_dims
    .group_segment_fixed_size: 0
    .kernarg_segment_align: 8
    .kernarg_segment_size: 344
    .language:       OpenCL C
    .language_version:
      - 2
      - 0
    .max_flat_workgroup_size: 1024
    .name:           _ZN2at6native12_GLOBAL__N_115adaptivemaxpoolIN3c108BFloat16EEEvPKT_PS5_Pliiiiiilllll
    .private_segment_fixed_size: 0
    .sgpr_count:     64
    .sgpr_spill_count: 0
    .symbol:         _ZN2at6native12_GLOBAL__N_115adaptivemaxpoolIN3c108BFloat16EEEvPKT_PS5_Pliiiiiilllll.kd
    .uniform_work_group_size: 1
    .uses_dynamic_stack: false
    .vgpr_count:     31
    .vgpr_spill_count: 0
    .wavefront_size: 64
  - .args:
      - .address_space:  global
        .offset:         0
        .size:           8
        .value_kind:     global_buffer
      - .address_space:  global
        .offset:         8
        .size:           8
        .value_kind:     global_buffer
      - .address_space:  global
        .offset:         16
        .size:           8
        .value_kind:     global_buffer
      - .offset:         24
        .size:           4
        .value_kind:     by_value
      - .offset:         28
        .size:           4
        .value_kind:     by_value
      - .offset:         32
        .size:           4
        .value_kind:     by_value
      - .offset:         36
        .size:           4
        .value_kind:     by_value
      - .offset:         40
        .size:           4
        .value_kind:     by_value
      - .offset:         44
        .size:           4
        .value_kind:     by_value
      - .offset:         48
        .size:           8
        .value_kind:     by_value
      - .offset:         56
        .size:           4
        .value_kind:     hidden_block_count_x
      - .offset:         60
        .size:           4
        .value_kind:     hidden_block_count_y
      - .offset:         64
        .size:           4
        .value_kind:     hidden_block_count_z
      - .offset:         68
        .size:           2
        .value_kind:     hidden_group_size_x
      - .offset:         70
        .size:           2
        .value_kind:     hidden_group_size_y
      - .offset:         72
        .size:           2
        .value_kind:     hidden_group_size_z
      - .offset:         74
        .size:           2
        .value_kind:     hidden_remainder_x
      - .offset:         76
        .size:           2
        .value_kind:     hidden_remainder_y
      - .offset:         78
        .size:           2
        .value_kind:     hidden_remainder_z
      - .offset:         96
        .size:           8
        .value_kind:     hidden_global_offset_x
      - .offset:         104
        .size:           8
        .value_kind:     hidden_global_offset_y
      - .offset:         112
        .size:           8
        .value_kind:     hidden_global_offset_z
      - .offset:         120
        .size:           2
        .value_kind:     hidden_grid_dims
    .group_segment_fixed_size: 0
    .kernarg_segment_align: 8
    .kernarg_segment_size: 312
    .language:       OpenCL C
    .language_version:
      - 2
      - 0
    .max_flat_workgroup_size: 1024
    .name:           _ZN2at6native12_GLOBAL__N_126atomicadaptivemaxgradinputIdEEvPT_PKS3_PKliiiiiil
    .private_segment_fixed_size: 0
    .sgpr_count:     35
    .sgpr_spill_count: 0
    .symbol:         _ZN2at6native12_GLOBAL__N_126atomicadaptivemaxgradinputIdEEvPT_PKS3_PKliiiiiil.kd
    .uniform_work_group_size: 1
    .uses_dynamic_stack: false
    .vgpr_count:     17
    .vgpr_spill_count: 0
    .wavefront_size: 64
  - .args:
      - .address_space:  global
        .offset:         0
        .size:           8
        .value_kind:     global_buffer
      - .address_space:  global
        .offset:         8
        .size:           8
        .value_kind:     global_buffer
      - .address_space:  global
        .offset:         16
        .size:           8
        .value_kind:     global_buffer
      - .offset:         24
        .size:           4
        .value_kind:     by_value
      - .offset:         28
        .size:           4
        .value_kind:     by_value
      - .offset:         32
        .size:           4
        .value_kind:     by_value
      - .offset:         36
        .size:           4
        .value_kind:     by_value
      - .offset:         40
        .size:           4
        .value_kind:     by_value
      - .offset:         44
        .size:           4
        .value_kind:     by_value
      - .offset:         48
        .size:           8
        .value_kind:     by_value
      - .offset:         56
        .size:           4
        .value_kind:     hidden_block_count_x
      - .offset:         60
        .size:           4
        .value_kind:     hidden_block_count_y
      - .offset:         64
        .size:           4
        .value_kind:     hidden_block_count_z
      - .offset:         68
        .size:           2
        .value_kind:     hidden_group_size_x
      - .offset:         70
        .size:           2
        .value_kind:     hidden_group_size_y
      - .offset:         72
        .size:           2
        .value_kind:     hidden_group_size_z
      - .offset:         74
        .size:           2
        .value_kind:     hidden_remainder_x
      - .offset:         76
        .size:           2
        .value_kind:     hidden_remainder_y
      - .offset:         78
        .size:           2
        .value_kind:     hidden_remainder_z
      - .offset:         96
        .size:           8
        .value_kind:     hidden_global_offset_x
      - .offset:         104
        .size:           8
        .value_kind:     hidden_global_offset_y
      - .offset:         112
        .size:           8
        .value_kind:     hidden_global_offset_z
      - .offset:         120
        .size:           2
        .value_kind:     hidden_grid_dims
    .group_segment_fixed_size: 0
    .kernarg_segment_align: 8
    .kernarg_segment_size: 312
    .language:       OpenCL C
    .language_version:
      - 2
      - 0
    .max_flat_workgroup_size: 1024
    .name:           _ZN2at6native12_GLOBAL__N_126atomicadaptivemaxgradinputIfEEvPT_PKS3_PKliiiiiil
    .private_segment_fixed_size: 0
    .sgpr_count:     35
    .sgpr_spill_count: 0
    .symbol:         _ZN2at6native12_GLOBAL__N_126atomicadaptivemaxgradinputIfEEvPT_PKS3_PKliiiiiil.kd
    .uniform_work_group_size: 1
    .uses_dynamic_stack: false
    .vgpr_count:     14
    .vgpr_spill_count: 0
    .wavefront_size: 64
  - .args:
      - .address_space:  global
        .offset:         0
        .size:           8
        .value_kind:     global_buffer
      - .address_space:  global
        .offset:         8
        .size:           8
        .value_kind:     global_buffer
      - .address_space:  global
        .offset:         16
        .size:           8
        .value_kind:     global_buffer
      - .offset:         24
        .size:           4
        .value_kind:     by_value
      - .offset:         28
        .size:           4
        .value_kind:     by_value
      - .offset:         32
        .size:           4
        .value_kind:     by_value
      - .offset:         36
        .size:           4
        .value_kind:     by_value
      - .offset:         40
        .size:           4
        .value_kind:     by_value
      - .offset:         44
        .size:           4
        .value_kind:     by_value
      - .offset:         48
        .size:           8
        .value_kind:     by_value
      - .offset:         56
        .size:           4
        .value_kind:     hidden_block_count_x
      - .offset:         60
        .size:           4
        .value_kind:     hidden_block_count_y
      - .offset:         64
        .size:           4
        .value_kind:     hidden_block_count_z
      - .offset:         68
        .size:           2
        .value_kind:     hidden_group_size_x
      - .offset:         70
        .size:           2
        .value_kind:     hidden_group_size_y
      - .offset:         72
        .size:           2
        .value_kind:     hidden_group_size_z
      - .offset:         74
        .size:           2
        .value_kind:     hidden_remainder_x
      - .offset:         76
        .size:           2
        .value_kind:     hidden_remainder_y
      - .offset:         78
        .size:           2
        .value_kind:     hidden_remainder_z
      - .offset:         96
        .size:           8
        .value_kind:     hidden_global_offset_x
      - .offset:         104
        .size:           8
        .value_kind:     hidden_global_offset_y
      - .offset:         112
        .size:           8
        .value_kind:     hidden_global_offset_z
      - .offset:         120
        .size:           2
        .value_kind:     hidden_grid_dims
    .group_segment_fixed_size: 0
    .kernarg_segment_align: 8
    .kernarg_segment_size: 312
    .language:       OpenCL C
    .language_version:
      - 2
      - 0
    .max_flat_workgroup_size: 1024
    .name:           _ZN2at6native12_GLOBAL__N_126atomicadaptivemaxgradinputIN3c104HalfEEEvPT_PKS5_PKliiiiiil
    .private_segment_fixed_size: 0
    .sgpr_count:     35
    .sgpr_spill_count: 0
    .symbol:         _ZN2at6native12_GLOBAL__N_126atomicadaptivemaxgradinputIN3c104HalfEEEvPT_PKS5_PKliiiiiil.kd
    .uniform_work_group_size: 1
    .uses_dynamic_stack: false
    .vgpr_count:     16
    .vgpr_spill_count: 0
    .wavefront_size: 64
  - .args:
      - .address_space:  global
        .offset:         0
        .size:           8
        .value_kind:     global_buffer
      - .address_space:  global
        .offset:         8
        .size:           8
        .value_kind:     global_buffer
      - .address_space:  global
        .offset:         16
        .size:           8
        .value_kind:     global_buffer
      - .offset:         24
        .size:           4
        .value_kind:     by_value
      - .offset:         28
        .size:           4
        .value_kind:     by_value
      - .offset:         32
        .size:           4
        .value_kind:     by_value
      - .offset:         36
        .size:           4
        .value_kind:     by_value
      - .offset:         40
        .size:           4
        .value_kind:     by_value
      - .offset:         44
        .size:           4
        .value_kind:     by_value
      - .offset:         48
        .size:           8
        .value_kind:     by_value
      - .offset:         56
        .size:           4
        .value_kind:     hidden_block_count_x
      - .offset:         60
        .size:           4
        .value_kind:     hidden_block_count_y
      - .offset:         64
        .size:           4
        .value_kind:     hidden_block_count_z
      - .offset:         68
        .size:           2
        .value_kind:     hidden_group_size_x
      - .offset:         70
        .size:           2
        .value_kind:     hidden_group_size_y
      - .offset:         72
        .size:           2
        .value_kind:     hidden_group_size_z
      - .offset:         74
        .size:           2
        .value_kind:     hidden_remainder_x
      - .offset:         76
        .size:           2
        .value_kind:     hidden_remainder_y
      - .offset:         78
        .size:           2
        .value_kind:     hidden_remainder_z
      - .offset:         96
        .size:           8
        .value_kind:     hidden_global_offset_x
      - .offset:         104
        .size:           8
        .value_kind:     hidden_global_offset_y
      - .offset:         112
        .size:           8
        .value_kind:     hidden_global_offset_z
      - .offset:         120
        .size:           2
        .value_kind:     hidden_grid_dims
    .group_segment_fixed_size: 0
    .kernarg_segment_align: 8
    .kernarg_segment_size: 312
    .language:       OpenCL C
    .language_version:
      - 2
      - 0
    .max_flat_workgroup_size: 1024
    .name:           _ZN2at6native12_GLOBAL__N_126atomicadaptivemaxgradinputIN3c108BFloat16EEEvPT_PKS5_PKliiiiiil
    .private_segment_fixed_size: 0
    .sgpr_count:     35
    .sgpr_spill_count: 0
    .symbol:         _ZN2at6native12_GLOBAL__N_126atomicadaptivemaxgradinputIN3c108BFloat16EEEvPT_PKS5_PKliiiiiil.kd
    .uniform_work_group_size: 1
    .uses_dynamic_stack: false
    .vgpr_count:     17
    .vgpr_spill_count: 0
    .wavefront_size: 64
  - .args:
      - .address_space:  global
        .offset:         0
        .size:           8
        .value_kind:     global_buffer
      - .address_space:  global
        .offset:         8
        .size:           8
        .value_kind:     global_buffer
      - .address_space:  global
        .offset:         16
        .size:           8
        .value_kind:     global_buffer
      - .offset:         24
        .size:           4
        .value_kind:     by_value
      - .offset:         28
        .size:           4
        .value_kind:     by_value
      - .offset:         32
        .size:           4
        .value_kind:     by_value
      - .offset:         36
        .size:           4
        .value_kind:     by_value
      - .offset:         40
        .size:           4
        .value_kind:     by_value
      - .offset:         44
        .size:           4
        .value_kind:     by_value
      - .offset:         48
        .size:           8
        .value_kind:     by_value
      - .offset:         56
        .size:           4
        .value_kind:     hidden_block_count_x
      - .offset:         60
        .size:           4
        .value_kind:     hidden_block_count_y
      - .offset:         64
        .size:           4
        .value_kind:     hidden_block_count_z
      - .offset:         68
        .size:           2
        .value_kind:     hidden_group_size_x
      - .offset:         70
        .size:           2
        .value_kind:     hidden_group_size_y
      - .offset:         72
        .size:           2
        .value_kind:     hidden_group_size_z
      - .offset:         74
        .size:           2
        .value_kind:     hidden_remainder_x
      - .offset:         76
        .size:           2
        .value_kind:     hidden_remainder_y
      - .offset:         78
        .size:           2
        .value_kind:     hidden_remainder_z
      - .offset:         96
        .size:           8
        .value_kind:     hidden_global_offset_x
      - .offset:         104
        .size:           8
        .value_kind:     hidden_global_offset_y
      - .offset:         112
        .size:           8
        .value_kind:     hidden_global_offset_z
      - .offset:         120
        .size:           2
        .value_kind:     hidden_grid_dims
    .group_segment_fixed_size: 0
    .kernarg_segment_align: 8
    .kernarg_segment_size: 312
    .language:       OpenCL C
    .language_version:
      - 2
      - 0
    .max_flat_workgroup_size: 1024
    .name:           _ZN2at6native12_GLOBAL__N_120adaptivemaxgradinputIdEEvPT_PKS3_PKliiiiiil
    .private_segment_fixed_size: 0
    .sgpr_count:     35
    .sgpr_spill_count: 0
    .symbol:         _ZN2at6native12_GLOBAL__N_120adaptivemaxgradinputIdEEvPT_PKS3_PKliiiiiil.kd
    .uniform_work_group_size: 1
    .uses_dynamic_stack: false
    .vgpr_count:     16
    .vgpr_spill_count: 0
    .wavefront_size: 64
  - .args:
      - .address_space:  global
        .offset:         0
        .size:           8
        .value_kind:     global_buffer
      - .address_space:  global
        .offset:         8
        .size:           8
        .value_kind:     global_buffer
      - .address_space:  global
        .offset:         16
        .size:           8
        .value_kind:     global_buffer
      - .offset:         24
        .size:           4
        .value_kind:     by_value
      - .offset:         28
        .size:           4
        .value_kind:     by_value
      - .offset:         32
        .size:           4
        .value_kind:     by_value
      - .offset:         36
        .size:           4
        .value_kind:     by_value
      - .offset:         40
        .size:           4
        .value_kind:     by_value
      - .offset:         44
        .size:           4
        .value_kind:     by_value
      - .offset:         48
        .size:           8
        .value_kind:     by_value
      - .offset:         56
        .size:           4
        .value_kind:     hidden_block_count_x
      - .offset:         60
        .size:           4
        .value_kind:     hidden_block_count_y
      - .offset:         64
        .size:           4
        .value_kind:     hidden_block_count_z
      - .offset:         68
        .size:           2
        .value_kind:     hidden_group_size_x
      - .offset:         70
        .size:           2
        .value_kind:     hidden_group_size_y
      - .offset:         72
        .size:           2
        .value_kind:     hidden_group_size_z
      - .offset:         74
        .size:           2
        .value_kind:     hidden_remainder_x
      - .offset:         76
        .size:           2
        .value_kind:     hidden_remainder_y
      - .offset:         78
        .size:           2
        .value_kind:     hidden_remainder_z
      - .offset:         96
        .size:           8
        .value_kind:     hidden_global_offset_x
      - .offset:         104
        .size:           8
        .value_kind:     hidden_global_offset_y
      - .offset:         112
        .size:           8
        .value_kind:     hidden_global_offset_z
      - .offset:         120
        .size:           2
        .value_kind:     hidden_grid_dims
    .group_segment_fixed_size: 0
    .kernarg_segment_align: 8
    .kernarg_segment_size: 312
    .language:       OpenCL C
    .language_version:
      - 2
      - 0
    .max_flat_workgroup_size: 1024
    .name:           _ZN2at6native12_GLOBAL__N_120adaptivemaxgradinputIfEEvPT_PKS3_PKliiiiiil
    .private_segment_fixed_size: 0
    .sgpr_count:     35
    .sgpr_spill_count: 0
    .symbol:         _ZN2at6native12_GLOBAL__N_120adaptivemaxgradinputIfEEvPT_PKS3_PKliiiiiil.kd
    .uniform_work_group_size: 1
    .uses_dynamic_stack: false
    .vgpr_count:     18
    .vgpr_spill_count: 0
    .wavefront_size: 64
  - .args:
      - .address_space:  global
        .offset:         0
        .size:           8
        .value_kind:     global_buffer
      - .address_space:  global
        .offset:         8
        .size:           8
        .value_kind:     global_buffer
      - .address_space:  global
        .offset:         16
        .size:           8
        .value_kind:     global_buffer
      - .offset:         24
        .size:           4
        .value_kind:     by_value
      - .offset:         28
        .size:           4
        .value_kind:     by_value
      - .offset:         32
        .size:           4
        .value_kind:     by_value
      - .offset:         36
        .size:           4
        .value_kind:     by_value
      - .offset:         40
        .size:           4
        .value_kind:     by_value
      - .offset:         44
        .size:           4
        .value_kind:     by_value
      - .offset:         48
        .size:           8
        .value_kind:     by_value
      - .offset:         56
        .size:           4
        .value_kind:     hidden_block_count_x
      - .offset:         60
        .size:           4
        .value_kind:     hidden_block_count_y
      - .offset:         64
        .size:           4
        .value_kind:     hidden_block_count_z
      - .offset:         68
        .size:           2
        .value_kind:     hidden_group_size_x
      - .offset:         70
        .size:           2
        .value_kind:     hidden_group_size_y
      - .offset:         72
        .size:           2
        .value_kind:     hidden_group_size_z
      - .offset:         74
        .size:           2
        .value_kind:     hidden_remainder_x
      - .offset:         76
        .size:           2
        .value_kind:     hidden_remainder_y
      - .offset:         78
        .size:           2
        .value_kind:     hidden_remainder_z
      - .offset:         96
        .size:           8
        .value_kind:     hidden_global_offset_x
      - .offset:         104
        .size:           8
        .value_kind:     hidden_global_offset_y
      - .offset:         112
        .size:           8
        .value_kind:     hidden_global_offset_z
      - .offset:         120
        .size:           2
        .value_kind:     hidden_grid_dims
    .group_segment_fixed_size: 0
    .kernarg_segment_align: 8
    .kernarg_segment_size: 312
    .language:       OpenCL C
    .language_version:
      - 2
      - 0
    .max_flat_workgroup_size: 1024
    .name:           _ZN2at6native12_GLOBAL__N_120adaptivemaxgradinputIN3c104HalfEEEvPT_PKS5_PKliiiiiil
    .private_segment_fixed_size: 0
    .sgpr_count:     35
    .sgpr_spill_count: 0
    .symbol:         _ZN2at6native12_GLOBAL__N_120adaptivemaxgradinputIN3c104HalfEEEvPT_PKS5_PKliiiiiil.kd
    .uniform_work_group_size: 1
    .uses_dynamic_stack: false
    .vgpr_count:     18
    .vgpr_spill_count: 0
    .wavefront_size: 64
  - .args:
      - .address_space:  global
        .offset:         0
        .size:           8
        .value_kind:     global_buffer
      - .address_space:  global
        .offset:         8
        .size:           8
        .value_kind:     global_buffer
      - .address_space:  global
        .offset:         16
        .size:           8
        .value_kind:     global_buffer
      - .offset:         24
        .size:           4
        .value_kind:     by_value
      - .offset:         28
        .size:           4
        .value_kind:     by_value
      - .offset:         32
        .size:           4
        .value_kind:     by_value
      - .offset:         36
        .size:           4
        .value_kind:     by_value
      - .offset:         40
        .size:           4
        .value_kind:     by_value
      - .offset:         44
        .size:           4
        .value_kind:     by_value
      - .offset:         48
        .size:           8
        .value_kind:     by_value
      - .offset:         56
        .size:           4
        .value_kind:     hidden_block_count_x
      - .offset:         60
        .size:           4
        .value_kind:     hidden_block_count_y
      - .offset:         64
        .size:           4
        .value_kind:     hidden_block_count_z
      - .offset:         68
        .size:           2
        .value_kind:     hidden_group_size_x
      - .offset:         70
        .size:           2
        .value_kind:     hidden_group_size_y
      - .offset:         72
        .size:           2
        .value_kind:     hidden_group_size_z
      - .offset:         74
        .size:           2
        .value_kind:     hidden_remainder_x
      - .offset:         76
        .size:           2
        .value_kind:     hidden_remainder_y
      - .offset:         78
        .size:           2
        .value_kind:     hidden_remainder_z
      - .offset:         96
        .size:           8
        .value_kind:     hidden_global_offset_x
      - .offset:         104
        .size:           8
        .value_kind:     hidden_global_offset_y
      - .offset:         112
        .size:           8
        .value_kind:     hidden_global_offset_z
      - .offset:         120
        .size:           2
        .value_kind:     hidden_grid_dims
    .group_segment_fixed_size: 0
    .kernarg_segment_align: 8
    .kernarg_segment_size: 312
    .language:       OpenCL C
    .language_version:
      - 2
      - 0
    .max_flat_workgroup_size: 1024
    .name:           _ZN2at6native12_GLOBAL__N_120adaptivemaxgradinputIN3c108BFloat16EEEvPT_PKS5_PKliiiiiil
    .private_segment_fixed_size: 0
    .sgpr_count:     35
    .sgpr_spill_count: 0
    .symbol:         _ZN2at6native12_GLOBAL__N_120adaptivemaxgradinputIN3c108BFloat16EEEvPT_PKS5_PKliiiiiil.kd
    .uniform_work_group_size: 1
    .uses_dynamic_stack: false
    .vgpr_count:     19
    .vgpr_spill_count: 0
    .wavefront_size: 64
amdhsa.target:   amdgcn-amd-amdhsa--gfx906
amdhsa.version:
  - 1
  - 2
...

	.end_amdgpu_metadata
